;; amdgpu-corpus repo=zjin-lcf/HeCBench kind=compiled arch=gfx1100 opt=O3
	.text
	.amdgcn_target "amdgcn-amd-amdhsa--gfx1100"
	.amdhsa_code_object_version 6
	.protected	_Z11pnpoly_basePiPK15HIP_vector_typeIfLj2EES3_i ; -- Begin function _Z11pnpoly_basePiPK15HIP_vector_typeIfLj2EES3_i
	.globl	_Z11pnpoly_basePiPK15HIP_vector_typeIfLj2EES3_i
	.p2align	8
	.type	_Z11pnpoly_basePiPK15HIP_vector_typeIfLj2EES3_i,@function
_Z11pnpoly_basePiPK15HIP_vector_typeIfLj2EES3_i: ; @_Z11pnpoly_basePiPK15HIP_vector_typeIfLj2EES3_i
; %bb.0:
	s_clause 0x1
	s_load_b32 s2, s[0:1], 0x2c
	s_load_b32 s3, s[0:1], 0x18
	s_waitcnt lgkmcnt(0)
	s_and_b32 s2, s2, 0xffff
	s_delay_alu instid0(SALU_CYCLE_1) | instskip(SKIP_1) | instid1(VALU_DEP_1)
	v_mad_u64_u32 v[1:2], null, s15, s2, v[0:1]
	s_mov_b32 s2, exec_lo
	v_cmpx_gt_i32_e64 s3, v1
	s_cbranch_execz .LBB0_16
; %bb.1:
	s_clause 0x1
	s_load_b128 s[4:7], s[0:1], 0x0
	s_load_b64 s[2:3], s[0:1], 0x10
	v_ashrrev_i32_e32 v2, 31, v1
	v_mov_b32_e32 v0, 0
	s_mov_b64 s[8:9], 0
	s_delay_alu instid0(VALU_DEP_2) | instskip(SKIP_1) | instid1(VALU_DEP_1)
	v_lshlrev_b64 v[3:4], 3, v[1:2]
	s_waitcnt lgkmcnt(0)
	v_add_co_u32 v3, vcc_lo, s6, v3
	s_delay_alu instid0(VALU_DEP_2)
	v_add_co_ci_u32_e32 v4, vcc_lo, s7, v4, vcc_lo
	s_load_b32 s12, s[2:3], 0x12bc
	s_mov_b32 s7, 0
	s_movk_i32 s6, 0x257
	global_load_b64 v[3:4], v[3:4], off
	s_mov_b32 s1, s7
	s_branch .LBB0_4
.LBB0_2:                                ;   in Loop: Header=BB0_4 Depth=1
	s_or_b32 exec_lo, exec_lo, s6
.LBB0_3:                                ;   in Loop: Header=BB0_4 Depth=1
	s_delay_alu instid0(SALU_CYCLE_1)
	s_or_b32 exec_lo, exec_lo, s0
	s_add_i32 s6, s1, 2
	s_add_i32 s1, s1, 3
	s_add_u32 s8, s8, 24
	s_addc_u32 s9, s9, 0
	s_cmpk_eq_i32 s8, 0x12c0
	s_cbranch_scc1 .LBB0_15
.LBB0_4:                                ; =>This Inner Loop Header: Depth=1
	s_add_u32 s10, s2, s8
	s_addc_u32 s11, s3, s9
	s_waitcnt vmcnt(0) lgkmcnt(0)
	v_cmp_ngt_f32_e64 s0, s12, v4
	s_load_b32 s13, s[10:11], 0x4
	s_waitcnt lgkmcnt(0)
	v_cmp_gt_f32_e32 vcc_lo, s13, v4
	s_delay_alu instid0(VALU_DEP_2) | instskip(NEXT) | instid1(SALU_CYCLE_1)
	s_xor_b32 s0, vcc_lo, s0
	s_xor_b32 s14, s0, -1
	s_delay_alu instid0(SALU_CYCLE_1)
	s_and_saveexec_b32 s0, s14
	s_cbranch_execz .LBB0_8
; %bb.5:                                ;   in Loop: Header=BB0_4 Depth=1
	s_lshl_b64 s[14:15], s[6:7], 3
	v_sub_f32_e64 v5, s12, s13
	s_add_u32 s14, s2, s14
	s_addc_u32 s15, s3, s15
	s_clause 0x1
	s_load_b32 s6, s[14:15], 0x0
	s_load_b32 s14, s[10:11], 0x0
	s_waitcnt lgkmcnt(0)
	v_sub_f32_e64 v6, s6, s14
	s_mov_b32 s6, exec_lo
	s_delay_alu instid0(VALU_DEP_1) | instskip(SKIP_1) | instid1(VALU_DEP_2)
	v_div_scale_f32 v7, null, v5, v5, v6
	v_div_scale_f32 v10, vcc_lo, v6, v5, v6
	v_rcp_f32_e32 v8, v7
	s_waitcnt_depctr 0xfff
	v_fma_f32 v9, -v7, v8, 1.0
	s_delay_alu instid0(VALU_DEP_1) | instskip(NEXT) | instid1(VALU_DEP_1)
	v_fmac_f32_e32 v8, v9, v8
	v_mul_f32_e32 v9, v10, v8
	s_delay_alu instid0(VALU_DEP_1) | instskip(NEXT) | instid1(VALU_DEP_1)
	v_fma_f32 v11, -v7, v9, v10
	v_fmac_f32_e32 v9, v11, v8
	s_delay_alu instid0(VALU_DEP_1) | instskip(NEXT) | instid1(VALU_DEP_1)
	v_fma_f32 v7, -v7, v9, v10
	v_div_fmas_f32 v7, v7, v8, v9
	s_delay_alu instid0(VALU_DEP_1) | instskip(SKIP_1) | instid1(VALU_DEP_1)
	v_div_fixup_f32 v5, v7, v5, v6
	v_subrev_f32_e32 v6, s13, v4
	v_fma_f32 v5, v6, v5, s14
	s_delay_alu instid0(VALU_DEP_1)
	v_cmpx_lt_f32_e32 v3, v5
; %bb.6:                                ;   in Loop: Header=BB0_4 Depth=1
	v_cmp_eq_u32_e32 vcc_lo, 0, v0
	v_cndmask_b32_e64 v0, 0, 1, vcc_lo
; %bb.7:                                ;   in Loop: Header=BB0_4 Depth=1
	s_or_b32 exec_lo, exec_lo, s6
.LBB0_8:                                ;   in Loop: Header=BB0_4 Depth=1
	s_delay_alu instid0(SALU_CYCLE_1) | instskip(SKIP_4) | instid1(VALU_DEP_2)
	s_or_b32 exec_lo, exec_lo, s0
	s_load_b32 s6, s[10:11], 0xc
	v_cmp_ngt_f32_e64 s0, s13, v4
	s_waitcnt lgkmcnt(0)
	v_cmp_gt_f32_e32 vcc_lo, s6, v4
	s_xor_b32 s0, vcc_lo, s0
	s_delay_alu instid0(SALU_CYCLE_1) | instskip(NEXT) | instid1(SALU_CYCLE_1)
	s_xor_b32 s12, s0, -1
	s_and_saveexec_b32 s0, s12
	s_cbranch_execz .LBB0_12
; %bb.9:                                ;   in Loop: Header=BB0_4 Depth=1
	s_clause 0x1
	s_load_b32 s12, s[10:11], 0x0
	s_load_b32 s14, s[10:11], 0x8
	v_sub_f32_e64 v5, s13, s6
	s_waitcnt lgkmcnt(0)
	v_sub_f32_e64 v6, s12, s14
	s_mov_b32 s12, exec_lo
	s_delay_alu instid0(VALU_DEP_1) | instskip(SKIP_1) | instid1(VALU_DEP_2)
	v_div_scale_f32 v7, null, v5, v5, v6
	v_div_scale_f32 v10, vcc_lo, v6, v5, v6
	v_rcp_f32_e32 v8, v7
	s_waitcnt_depctr 0xfff
	v_fma_f32 v9, -v7, v8, 1.0
	s_delay_alu instid0(VALU_DEP_1) | instskip(NEXT) | instid1(VALU_DEP_1)
	v_fmac_f32_e32 v8, v9, v8
	v_mul_f32_e32 v9, v10, v8
	s_delay_alu instid0(VALU_DEP_1) | instskip(NEXT) | instid1(VALU_DEP_1)
	v_fma_f32 v11, -v7, v9, v10
	v_fmac_f32_e32 v9, v11, v8
	s_delay_alu instid0(VALU_DEP_1) | instskip(NEXT) | instid1(VALU_DEP_1)
	v_fma_f32 v7, -v7, v9, v10
	v_div_fmas_f32 v7, v7, v8, v9
	s_delay_alu instid0(VALU_DEP_1) | instskip(SKIP_1) | instid1(VALU_DEP_1)
	v_div_fixup_f32 v5, v7, v5, v6
	v_subrev_f32_e32 v6, s6, v4
	v_fma_f32 v5, v6, v5, s14
	s_delay_alu instid0(VALU_DEP_1)
	v_cmpx_lt_f32_e32 v3, v5
; %bb.10:                               ;   in Loop: Header=BB0_4 Depth=1
	v_cmp_eq_u32_e32 vcc_lo, 0, v0
	v_cndmask_b32_e64 v0, 0, 1, vcc_lo
; %bb.11:                               ;   in Loop: Header=BB0_4 Depth=1
	s_or_b32 exec_lo, exec_lo, s12
.LBB0_12:                               ;   in Loop: Header=BB0_4 Depth=1
	s_delay_alu instid0(SALU_CYCLE_1) | instskip(SKIP_4) | instid1(VALU_DEP_2)
	s_or_b32 exec_lo, exec_lo, s0
	s_load_b32 s12, s[10:11], 0x14
	v_cmp_ngt_f32_e64 s0, s6, v4
	s_waitcnt lgkmcnt(0)
	v_cmp_gt_f32_e32 vcc_lo, s12, v4
	s_xor_b32 s0, vcc_lo, s0
	s_delay_alu instid0(SALU_CYCLE_1) | instskip(NEXT) | instid1(SALU_CYCLE_1)
	s_xor_b32 s13, s0, -1
	s_and_saveexec_b32 s0, s13
	s_cbranch_execz .LBB0_3
; %bb.13:                               ;   in Loop: Header=BB0_4 Depth=1
	s_clause 0x1
	s_load_b32 s13, s[10:11], 0x8
	s_load_b32 s10, s[10:11], 0x10
	v_sub_f32_e64 v5, s6, s12
	s_mov_b32 s6, exec_lo
	s_waitcnt lgkmcnt(0)
	v_sub_f32_e64 v6, s13, s10
	s_delay_alu instid0(VALU_DEP_1) | instskip(SKIP_1) | instid1(VALU_DEP_2)
	v_div_scale_f32 v7, null, v5, v5, v6
	v_div_scale_f32 v10, vcc_lo, v6, v5, v6
	v_rcp_f32_e32 v8, v7
	s_waitcnt_depctr 0xfff
	v_fma_f32 v9, -v7, v8, 1.0
	s_delay_alu instid0(VALU_DEP_1) | instskip(NEXT) | instid1(VALU_DEP_1)
	v_fmac_f32_e32 v8, v9, v8
	v_mul_f32_e32 v9, v10, v8
	s_delay_alu instid0(VALU_DEP_1) | instskip(NEXT) | instid1(VALU_DEP_1)
	v_fma_f32 v11, -v7, v9, v10
	v_fmac_f32_e32 v9, v11, v8
	s_delay_alu instid0(VALU_DEP_1) | instskip(NEXT) | instid1(VALU_DEP_1)
	v_fma_f32 v7, -v7, v9, v10
	v_div_fmas_f32 v7, v7, v8, v9
	s_delay_alu instid0(VALU_DEP_1) | instskip(SKIP_1) | instid1(VALU_DEP_1)
	v_div_fixup_f32 v5, v7, v5, v6
	v_subrev_f32_e32 v6, s12, v4
	v_fma_f32 v5, v6, v5, s10
	s_delay_alu instid0(VALU_DEP_1)
	v_cmpx_lt_f32_e32 v3, v5
	s_cbranch_execz .LBB0_2
; %bb.14:                               ;   in Loop: Header=BB0_4 Depth=1
	v_cmp_eq_u32_e32 vcc_lo, 0, v0
	v_cndmask_b32_e64 v0, 0, 1, vcc_lo
	s_branch .LBB0_2
.LBB0_15:
	v_lshlrev_b64 v[1:2], 2, v[1:2]
	s_delay_alu instid0(VALU_DEP_1) | instskip(NEXT) | instid1(VALU_DEP_2)
	v_add_co_u32 v1, vcc_lo, s4, v1
	v_add_co_ci_u32_e32 v2, vcc_lo, s5, v2, vcc_lo
	global_store_b32 v[1:2], v0, off
.LBB0_16:
	s_nop 0
	s_sendmsg sendmsg(MSG_DEALLOC_VGPRS)
	s_endpgm
	.section	.rodata,"a",@progbits
	.p2align	6, 0x0
	.amdhsa_kernel _Z11pnpoly_basePiPK15HIP_vector_typeIfLj2EES3_i
		.amdhsa_group_segment_fixed_size 0
		.amdhsa_private_segment_fixed_size 0
		.amdhsa_kernarg_size 288
		.amdhsa_user_sgpr_count 15
		.amdhsa_user_sgpr_dispatch_ptr 0
		.amdhsa_user_sgpr_queue_ptr 0
		.amdhsa_user_sgpr_kernarg_segment_ptr 1
		.amdhsa_user_sgpr_dispatch_id 0
		.amdhsa_user_sgpr_private_segment_size 0
		.amdhsa_wavefront_size32 1
		.amdhsa_uses_dynamic_stack 0
		.amdhsa_enable_private_segment 0
		.amdhsa_system_sgpr_workgroup_id_x 1
		.amdhsa_system_sgpr_workgroup_id_y 0
		.amdhsa_system_sgpr_workgroup_id_z 0
		.amdhsa_system_sgpr_workgroup_info 0
		.amdhsa_system_vgpr_workitem_id 0
		.amdhsa_next_free_vgpr 12
		.amdhsa_next_free_sgpr 16
		.amdhsa_reserve_vcc 1
		.amdhsa_float_round_mode_32 0
		.amdhsa_float_round_mode_16_64 0
		.amdhsa_float_denorm_mode_32 3
		.amdhsa_float_denorm_mode_16_64 3
		.amdhsa_dx10_clamp 1
		.amdhsa_ieee_mode 1
		.amdhsa_fp16_overflow 0
		.amdhsa_workgroup_processor_mode 1
		.amdhsa_memory_ordered 1
		.amdhsa_forward_progress 0
		.amdhsa_shared_vgpr_count 0
		.amdhsa_exception_fp_ieee_invalid_op 0
		.amdhsa_exception_fp_denorm_src 0
		.amdhsa_exception_fp_ieee_div_zero 0
		.amdhsa_exception_fp_ieee_overflow 0
		.amdhsa_exception_fp_ieee_underflow 0
		.amdhsa_exception_fp_ieee_inexact 0
		.amdhsa_exception_int_div_zero 0
	.end_amdhsa_kernel
	.text
.Lfunc_end0:
	.size	_Z11pnpoly_basePiPK15HIP_vector_typeIfLj2EES3_i, .Lfunc_end0-_Z11pnpoly_basePiPK15HIP_vector_typeIfLj2EES3_i
                                        ; -- End function
	.section	.AMDGPU.csdata,"",@progbits
; Kernel info:
; codeLenInByte = 944
; NumSgprs: 18
; NumVgprs: 12
; ScratchSize: 0
; MemoryBound: 0
; FloatMode: 240
; IeeeMode: 1
; LDSByteSize: 0 bytes/workgroup (compile time only)
; SGPRBlocks: 2
; VGPRBlocks: 1
; NumSGPRsForWavesPerEU: 18
; NumVGPRsForWavesPerEU: 12
; Occupancy: 16
; WaveLimiterHint : 0
; COMPUTE_PGM_RSRC2:SCRATCH_EN: 0
; COMPUTE_PGM_RSRC2:USER_SGPR: 15
; COMPUTE_PGM_RSRC2:TRAP_HANDLER: 0
; COMPUTE_PGM_RSRC2:TGID_X_EN: 1
; COMPUTE_PGM_RSRC2:TGID_Y_EN: 0
; COMPUTE_PGM_RSRC2:TGID_Z_EN: 0
; COMPUTE_PGM_RSRC2:TIDIG_COMP_CNT: 0
	.section	.text._Z10pnpoly_optILi1EEvPiPK15HIP_vector_typeIfLj2EES4_i,"axG",@progbits,_Z10pnpoly_optILi1EEvPiPK15HIP_vector_typeIfLj2EES4_i,comdat
	.protected	_Z10pnpoly_optILi1EEvPiPK15HIP_vector_typeIfLj2EES4_i ; -- Begin function _Z10pnpoly_optILi1EEvPiPK15HIP_vector_typeIfLj2EES4_i
	.globl	_Z10pnpoly_optILi1EEvPiPK15HIP_vector_typeIfLj2EES4_i
	.p2align	8
	.type	_Z10pnpoly_optILi1EEvPiPK15HIP_vector_typeIfLj2EES4_i,@function
_Z10pnpoly_optILi1EEvPiPK15HIP_vector_typeIfLj2EES4_i: ; @_Z10pnpoly_optILi1EEvPiPK15HIP_vector_typeIfLj2EES4_i
; %bb.0:
	s_load_b32 s2, s[0:1], 0x18
	v_lshl_add_u32 v0, s15, 8, v0
	s_waitcnt lgkmcnt(0)
	s_delay_alu instid0(VALU_DEP_1)
	v_cmp_gt_i32_e32 vcc_lo, s2, v0
	s_and_saveexec_b32 s2, vcc_lo
	s_cbranch_execz .LBB1_16
; %bb.1:
	s_clause 0x1
	s_load_b128 s[4:7], s[0:1], 0x0
	s_load_b64 s[2:3], s[0:1], 0x10
	v_ashrrev_i32_e32 v1, 31, v0
	v_mov_b32_e32 v4, 0
	s_mov_b64 s[8:9], 0
	s_delay_alu instid0(VALU_DEP_2) | instskip(SKIP_1) | instid1(VALU_DEP_1)
	v_lshlrev_b64 v[2:3], 3, v[0:1]
	s_waitcnt lgkmcnt(0)
	v_add_co_u32 v2, vcc_lo, s6, v2
	s_delay_alu instid0(VALU_DEP_2)
	v_add_co_ci_u32_e32 v3, vcc_lo, s7, v3, vcc_lo
	s_load_b32 s12, s[2:3], 0x12bc
	s_mov_b32 s7, 0
	s_movk_i32 s6, 0x257
	global_load_b64 v[2:3], v[2:3], off
	s_mov_b32 s1, s7
	s_branch .LBB1_4
.LBB1_2:                                ;   in Loop: Header=BB1_4 Depth=1
	s_or_b32 exec_lo, exec_lo, s6
.LBB1_3:                                ;   in Loop: Header=BB1_4 Depth=1
	s_delay_alu instid0(SALU_CYCLE_1)
	s_or_b32 exec_lo, exec_lo, s0
	s_add_i32 s6, s1, 2
	s_add_i32 s1, s1, 3
	s_add_u32 s8, s8, 24
	s_addc_u32 s9, s9, 0
	s_cmpk_lg_i32 s8, 0x12c0
	s_cbranch_scc0 .LBB1_15
.LBB1_4:                                ; =>This Inner Loop Header: Depth=1
	s_add_u32 s10, s2, s8
	s_addc_u32 s11, s3, s9
	s_waitcnt vmcnt(0) lgkmcnt(0)
	v_cmp_ngt_f32_e64 s0, s12, v3
	s_load_b32 s13, s[10:11], 0x4
	s_waitcnt lgkmcnt(0)
	v_cmp_gt_f32_e32 vcc_lo, s13, v3
	s_delay_alu instid0(VALU_DEP_2) | instskip(NEXT) | instid1(SALU_CYCLE_1)
	s_xor_b32 s0, vcc_lo, s0
	s_xor_b32 s14, s0, -1
	s_delay_alu instid0(SALU_CYCLE_1)
	s_and_saveexec_b32 s0, s14
	s_cbranch_execz .LBB1_8
; %bb.5:                                ;   in Loop: Header=BB1_4 Depth=1
	s_lshl_b64 s[14:15], s[6:7], 3
	v_sub_f32_e64 v5, s12, s13
	s_add_u32 s14, s2, s14
	s_addc_u32 s15, s3, s15
	s_clause 0x1
	s_load_b32 s6, s[14:15], 0x0
	s_load_b32 s14, s[10:11], 0x0
	s_waitcnt lgkmcnt(0)
	v_sub_f32_e64 v6, s6, s14
	s_mov_b32 s6, exec_lo
	s_delay_alu instid0(VALU_DEP_1) | instskip(SKIP_1) | instid1(VALU_DEP_2)
	v_div_scale_f32 v7, null, v5, v5, v6
	v_div_scale_f32 v10, vcc_lo, v6, v5, v6
	v_rcp_f32_e32 v8, v7
	s_waitcnt_depctr 0xfff
	v_fma_f32 v9, -v7, v8, 1.0
	s_delay_alu instid0(VALU_DEP_1) | instskip(NEXT) | instid1(VALU_DEP_1)
	v_fmac_f32_e32 v8, v9, v8
	v_mul_f32_e32 v9, v10, v8
	s_delay_alu instid0(VALU_DEP_1) | instskip(NEXT) | instid1(VALU_DEP_1)
	v_fma_f32 v11, -v7, v9, v10
	v_fmac_f32_e32 v9, v11, v8
	s_delay_alu instid0(VALU_DEP_1) | instskip(NEXT) | instid1(VALU_DEP_1)
	v_fma_f32 v7, -v7, v9, v10
	v_div_fmas_f32 v7, v7, v8, v9
	s_delay_alu instid0(VALU_DEP_1) | instskip(SKIP_1) | instid1(VALU_DEP_1)
	v_div_fixup_f32 v5, v7, v5, v6
	v_subrev_f32_e32 v6, s13, v3
	v_fma_f32 v5, v6, v5, s14
	s_delay_alu instid0(VALU_DEP_1)
	v_cmpx_lt_f32_e32 v2, v5
; %bb.6:                                ;   in Loop: Header=BB1_4 Depth=1
	v_cmp_eq_u32_e32 vcc_lo, 0, v4
	v_cndmask_b32_e64 v4, 0, 1, vcc_lo
; %bb.7:                                ;   in Loop: Header=BB1_4 Depth=1
	s_or_b32 exec_lo, exec_lo, s6
.LBB1_8:                                ;   in Loop: Header=BB1_4 Depth=1
	s_delay_alu instid0(SALU_CYCLE_1) | instskip(SKIP_4) | instid1(VALU_DEP_2)
	s_or_b32 exec_lo, exec_lo, s0
	s_load_b32 s6, s[10:11], 0xc
	v_cmp_ngt_f32_e64 s0, s13, v3
	s_waitcnt lgkmcnt(0)
	v_cmp_gt_f32_e32 vcc_lo, s6, v3
	s_xor_b32 s0, vcc_lo, s0
	s_delay_alu instid0(SALU_CYCLE_1) | instskip(NEXT) | instid1(SALU_CYCLE_1)
	s_xor_b32 s12, s0, -1
	s_and_saveexec_b32 s0, s12
	s_cbranch_execz .LBB1_12
; %bb.9:                                ;   in Loop: Header=BB1_4 Depth=1
	s_clause 0x1
	s_load_b32 s12, s[10:11], 0x0
	s_load_b32 s14, s[10:11], 0x8
	v_sub_f32_e64 v5, s13, s6
	s_waitcnt lgkmcnt(0)
	v_sub_f32_e64 v6, s12, s14
	s_mov_b32 s12, exec_lo
	s_delay_alu instid0(VALU_DEP_1) | instskip(SKIP_1) | instid1(VALU_DEP_2)
	v_div_scale_f32 v7, null, v5, v5, v6
	v_div_scale_f32 v10, vcc_lo, v6, v5, v6
	v_rcp_f32_e32 v8, v7
	s_waitcnt_depctr 0xfff
	v_fma_f32 v9, -v7, v8, 1.0
	s_delay_alu instid0(VALU_DEP_1) | instskip(NEXT) | instid1(VALU_DEP_1)
	v_fmac_f32_e32 v8, v9, v8
	v_mul_f32_e32 v9, v10, v8
	s_delay_alu instid0(VALU_DEP_1) | instskip(NEXT) | instid1(VALU_DEP_1)
	v_fma_f32 v11, -v7, v9, v10
	v_fmac_f32_e32 v9, v11, v8
	s_delay_alu instid0(VALU_DEP_1) | instskip(NEXT) | instid1(VALU_DEP_1)
	v_fma_f32 v7, -v7, v9, v10
	v_div_fmas_f32 v7, v7, v8, v9
	s_delay_alu instid0(VALU_DEP_1) | instskip(SKIP_1) | instid1(VALU_DEP_1)
	v_div_fixup_f32 v5, v7, v5, v6
	v_subrev_f32_e32 v6, s6, v3
	v_fma_f32 v5, v6, v5, s14
	s_delay_alu instid0(VALU_DEP_1)
	v_cmpx_lt_f32_e32 v2, v5
; %bb.10:                               ;   in Loop: Header=BB1_4 Depth=1
	v_cmp_eq_u32_e32 vcc_lo, 0, v4
	v_cndmask_b32_e64 v4, 0, 1, vcc_lo
; %bb.11:                               ;   in Loop: Header=BB1_4 Depth=1
	s_or_b32 exec_lo, exec_lo, s12
.LBB1_12:                               ;   in Loop: Header=BB1_4 Depth=1
	s_delay_alu instid0(SALU_CYCLE_1) | instskip(SKIP_4) | instid1(VALU_DEP_2)
	s_or_b32 exec_lo, exec_lo, s0
	s_load_b32 s12, s[10:11], 0x14
	v_cmp_ngt_f32_e64 s0, s6, v3
	s_waitcnt lgkmcnt(0)
	v_cmp_gt_f32_e32 vcc_lo, s12, v3
	s_xor_b32 s0, vcc_lo, s0
	s_delay_alu instid0(SALU_CYCLE_1) | instskip(NEXT) | instid1(SALU_CYCLE_1)
	s_xor_b32 s13, s0, -1
	s_and_saveexec_b32 s0, s13
	s_cbranch_execz .LBB1_3
; %bb.13:                               ;   in Loop: Header=BB1_4 Depth=1
	s_clause 0x1
	s_load_b32 s13, s[10:11], 0x8
	s_load_b32 s10, s[10:11], 0x10
	v_sub_f32_e64 v5, s6, s12
	s_mov_b32 s6, exec_lo
	s_waitcnt lgkmcnt(0)
	v_sub_f32_e64 v6, s13, s10
	s_delay_alu instid0(VALU_DEP_1) | instskip(SKIP_1) | instid1(VALU_DEP_2)
	v_div_scale_f32 v7, null, v5, v5, v6
	v_div_scale_f32 v10, vcc_lo, v6, v5, v6
	v_rcp_f32_e32 v8, v7
	s_waitcnt_depctr 0xfff
	v_fma_f32 v9, -v7, v8, 1.0
	s_delay_alu instid0(VALU_DEP_1) | instskip(NEXT) | instid1(VALU_DEP_1)
	v_fmac_f32_e32 v8, v9, v8
	v_mul_f32_e32 v9, v10, v8
	s_delay_alu instid0(VALU_DEP_1) | instskip(NEXT) | instid1(VALU_DEP_1)
	v_fma_f32 v11, -v7, v9, v10
	v_fmac_f32_e32 v9, v11, v8
	s_delay_alu instid0(VALU_DEP_1) | instskip(NEXT) | instid1(VALU_DEP_1)
	v_fma_f32 v7, -v7, v9, v10
	v_div_fmas_f32 v7, v7, v8, v9
	s_delay_alu instid0(VALU_DEP_1) | instskip(SKIP_1) | instid1(VALU_DEP_1)
	v_div_fixup_f32 v5, v7, v5, v6
	v_subrev_f32_e32 v6, s12, v3
	v_fma_f32 v5, v6, v5, s10
	s_delay_alu instid0(VALU_DEP_1)
	v_cmpx_lt_f32_e32 v2, v5
	s_cbranch_execz .LBB1_2
; %bb.14:                               ;   in Loop: Header=BB1_4 Depth=1
	v_cmp_eq_u32_e32 vcc_lo, 0, v4
	v_cndmask_b32_e64 v4, 0, 1, vcc_lo
	s_branch .LBB1_2
.LBB1_15:
	v_lshlrev_b64 v[0:1], 2, v[0:1]
	s_delay_alu instid0(VALU_DEP_1) | instskip(NEXT) | instid1(VALU_DEP_2)
	v_add_co_u32 v0, vcc_lo, s4, v0
	v_add_co_ci_u32_e32 v1, vcc_lo, s5, v1, vcc_lo
	global_store_b32 v[0:1], v4, off
.LBB1_16:
	s_nop 0
	s_sendmsg sendmsg(MSG_DEALLOC_VGPRS)
	s_endpgm
	.section	.rodata,"a",@progbits
	.p2align	6, 0x0
	.amdhsa_kernel _Z10pnpoly_optILi1EEvPiPK15HIP_vector_typeIfLj2EES4_i
		.amdhsa_group_segment_fixed_size 0
		.amdhsa_private_segment_fixed_size 0
		.amdhsa_kernarg_size 28
		.amdhsa_user_sgpr_count 15
		.amdhsa_user_sgpr_dispatch_ptr 0
		.amdhsa_user_sgpr_queue_ptr 0
		.amdhsa_user_sgpr_kernarg_segment_ptr 1
		.amdhsa_user_sgpr_dispatch_id 0
		.amdhsa_user_sgpr_private_segment_size 0
		.amdhsa_wavefront_size32 1
		.amdhsa_uses_dynamic_stack 0
		.amdhsa_enable_private_segment 0
		.amdhsa_system_sgpr_workgroup_id_x 1
		.amdhsa_system_sgpr_workgroup_id_y 0
		.amdhsa_system_sgpr_workgroup_id_z 0
		.amdhsa_system_sgpr_workgroup_info 0
		.amdhsa_system_vgpr_workitem_id 0
		.amdhsa_next_free_vgpr 12
		.amdhsa_next_free_sgpr 16
		.amdhsa_reserve_vcc 1
		.amdhsa_float_round_mode_32 0
		.amdhsa_float_round_mode_16_64 0
		.amdhsa_float_denorm_mode_32 3
		.amdhsa_float_denorm_mode_16_64 3
		.amdhsa_dx10_clamp 1
		.amdhsa_ieee_mode 1
		.amdhsa_fp16_overflow 0
		.amdhsa_workgroup_processor_mode 1
		.amdhsa_memory_ordered 1
		.amdhsa_forward_progress 0
		.amdhsa_shared_vgpr_count 0
		.amdhsa_exception_fp_ieee_invalid_op 0
		.amdhsa_exception_fp_denorm_src 0
		.amdhsa_exception_fp_ieee_div_zero 0
		.amdhsa_exception_fp_ieee_overflow 0
		.amdhsa_exception_fp_ieee_underflow 0
		.amdhsa_exception_fp_ieee_inexact 0
		.amdhsa_exception_int_div_zero 0
	.end_amdhsa_kernel
	.section	.text._Z10pnpoly_optILi1EEvPiPK15HIP_vector_typeIfLj2EES4_i,"axG",@progbits,_Z10pnpoly_optILi1EEvPiPK15HIP_vector_typeIfLj2EES4_i,comdat
.Lfunc_end1:
	.size	_Z10pnpoly_optILi1EEvPiPK15HIP_vector_typeIfLj2EES4_i, .Lfunc_end1-_Z10pnpoly_optILi1EEvPiPK15HIP_vector_typeIfLj2EES4_i
                                        ; -- End function
	.section	.AMDGPU.csdata,"",@progbits
; Kernel info:
; codeLenInByte = 920
; NumSgprs: 18
; NumVgprs: 12
; ScratchSize: 0
; MemoryBound: 0
; FloatMode: 240
; IeeeMode: 1
; LDSByteSize: 0 bytes/workgroup (compile time only)
; SGPRBlocks: 2
; VGPRBlocks: 1
; NumSGPRsForWavesPerEU: 18
; NumVGPRsForWavesPerEU: 12
; Occupancy: 16
; WaveLimiterHint : 0
; COMPUTE_PGM_RSRC2:SCRATCH_EN: 0
; COMPUTE_PGM_RSRC2:USER_SGPR: 15
; COMPUTE_PGM_RSRC2:TRAP_HANDLER: 0
; COMPUTE_PGM_RSRC2:TGID_X_EN: 1
; COMPUTE_PGM_RSRC2:TGID_Y_EN: 0
; COMPUTE_PGM_RSRC2:TGID_Z_EN: 0
; COMPUTE_PGM_RSRC2:TIDIG_COMP_CNT: 0
	.section	.text._Z10pnpoly_optILi2EEvPiPK15HIP_vector_typeIfLj2EES4_i,"axG",@progbits,_Z10pnpoly_optILi2EEvPiPK15HIP_vector_typeIfLj2EES4_i,comdat
	.protected	_Z10pnpoly_optILi2EEvPiPK15HIP_vector_typeIfLj2EES4_i ; -- Begin function _Z10pnpoly_optILi2EEvPiPK15HIP_vector_typeIfLj2EES4_i
	.globl	_Z10pnpoly_optILi2EEvPiPK15HIP_vector_typeIfLj2EES4_i
	.p2align	8
	.type	_Z10pnpoly_optILi2EEvPiPK15HIP_vector_typeIfLj2EES4_i,@function
_Z10pnpoly_optILi2EEvPiPK15HIP_vector_typeIfLj2EES4_i: ; @_Z10pnpoly_optILi2EEvPiPK15HIP_vector_typeIfLj2EES4_i
; %bb.0:
	s_load_b32 s8, s[0:1], 0x18
	v_lshl_add_u32 v0, s15, 9, v0
	s_mov_b32 s2, exec_lo
	s_waitcnt lgkmcnt(0)
	s_delay_alu instid0(VALU_DEP_1)
	v_cmpx_gt_i32_e64 s8, v0
	s_cbranch_execz .LBB2_23
; %bb.1:
	s_clause 0x1
	s_load_b128 s[4:7], s[0:1], 0x0
	s_load_b64 s[2:3], s[0:1], 0x10
	v_ashrrev_i32_e32 v1, 31, v0
	v_add_nc_u32_e32 v4, 0x100, v0
                                        ; implicit-def: $vgpr5
	s_delay_alu instid0(VALU_DEP_2) | instskip(NEXT) | instid1(VALU_DEP_2)
	v_lshlrev_b64 v[2:3], 3, v[0:1]
	v_cmp_gt_i32_e64 s0, s8, v4
	s_waitcnt lgkmcnt(0)
	s_delay_alu instid0(VALU_DEP_2) | instskip(NEXT) | instid1(VALU_DEP_3)
	v_add_co_u32 v6, vcc_lo, s6, v2
	v_add_co_ci_u32_e32 v7, vcc_lo, s7, v3, vcc_lo
	global_load_b64 v[2:3], v[6:7], off
	s_and_saveexec_b32 s1, s0
	s_cbranch_execz .LBB2_3
; %bb.2:
	global_load_b64 v[4:5], v[6:7], off offset:2048
.LBB2_3:
	s_or_b32 exec_lo, exec_lo, s1
	s_load_b64 s[8:9], s[2:3], 0x12b8
	s_mov_b32 s6, 0
	s_delay_alu instid0(SALU_CYCLE_1) | instskip(NEXT) | instid1(SALU_CYCLE_1)
	s_mov_b32 s7, s6
	v_dual_mov_b32 v6, s6 :: v_dual_mov_b32 v7, s7
	s_mov_b64 s[6:7], 0
	s_branch .LBB2_6
.LBB2_4:                                ;   in Loop: Header=BB2_6 Depth=1
	s_or_b32 exec_lo, exec_lo, s10
.LBB2_5:                                ;   in Loop: Header=BB2_6 Depth=1
	s_delay_alu instid0(SALU_CYCLE_1)
	s_or_b32 exec_lo, exec_lo, s1
	s_add_u32 s6, s6, 16
	s_addc_u32 s7, s7, 0
	s_cmpk_lg_i32 s6, 0x12c0
	s_cbranch_scc0 .LBB2_21
.LBB2_6:                                ; =>This Inner Loop Header: Depth=1
	s_add_u32 s12, s2, s6
	s_addc_u32 s13, s3, s7
	s_waitcnt vmcnt(0) lgkmcnt(0)
	v_cmp_ngt_f32_e64 s1, s9, v3
	s_load_b64 s[10:11], s[12:13], 0x0
	s_waitcnt lgkmcnt(0)
	v_sub_f32_e64 v8, s8, s10
	v_sub_f32_e64 v9, s9, s11
	s_delay_alu instid0(VALU_DEP_1) | instskip(SKIP_1) | instid1(VALU_DEP_2)
	v_div_scale_f32 v10, null, v9, v9, v8
	v_div_scale_f32 v13, vcc_lo, v8, v9, v8
	v_rcp_f32_e32 v11, v10
	s_waitcnt_depctr 0xfff
	v_fma_f32 v12, -v10, v11, 1.0
	s_delay_alu instid0(VALU_DEP_1) | instskip(NEXT) | instid1(VALU_DEP_1)
	v_fmac_f32_e32 v11, v12, v11
	v_mul_f32_e32 v12, v13, v11
	s_delay_alu instid0(VALU_DEP_1) | instskip(NEXT) | instid1(VALU_DEP_1)
	v_fma_f32 v14, -v10, v12, v13
	v_fmac_f32_e32 v12, v14, v11
	s_delay_alu instid0(VALU_DEP_1) | instskip(NEXT) | instid1(VALU_DEP_1)
	v_fma_f32 v10, -v10, v12, v13
	v_div_fmas_f32 v10, v10, v11, v12
	v_cmp_gt_f32_e32 vcc_lo, s11, v3
	s_delay_alu instid0(VALU_DEP_2) | instskip(SKIP_1) | instid1(SALU_CYCLE_1)
	v_div_fixup_f32 v8, v10, v9, v8
	s_xor_b32 s1, vcc_lo, s1
	s_xor_b32 s8, s1, -1
	s_delay_alu instid0(SALU_CYCLE_1)
	s_and_saveexec_b32 s1, s8
	s_cbranch_execz .LBB2_10
; %bb.7:                                ;   in Loop: Header=BB2_6 Depth=1
	v_subrev_f32_e32 v9, s11, v3
	s_mov_b32 s8, exec_lo
	s_delay_alu instid0(VALU_DEP_1) | instskip(NEXT) | instid1(VALU_DEP_1)
	v_fma_f32 v9, v8, v9, s10
	v_cmpx_lt_f32_e32 v2, v9
; %bb.8:                                ;   in Loop: Header=BB2_6 Depth=1
	v_cmp_eq_u32_e32 vcc_lo, 0, v6
	v_cndmask_b32_e64 v6, 0, 1, vcc_lo
; %bb.9:                                ;   in Loop: Header=BB2_6 Depth=1
	s_or_b32 exec_lo, exec_lo, s8
.LBB2_10:                               ;   in Loop: Header=BB2_6 Depth=1
	s_delay_alu instid0(SALU_CYCLE_1) | instskip(SKIP_2) | instid1(VALU_DEP_1)
	s_or_b32 exec_lo, exec_lo, s1
	v_cmp_gt_f32_e32 vcc_lo, s11, v5
	v_cmp_ngt_f32_e64 s1, s9, v5
	s_xor_b32 s1, vcc_lo, s1
	s_delay_alu instid0(SALU_CYCLE_1) | instskip(NEXT) | instid1(SALU_CYCLE_1)
	s_xor_b32 s8, s1, -1
	s_and_saveexec_b32 s1, s8
	s_cbranch_execz .LBB2_14
; %bb.11:                               ;   in Loop: Header=BB2_6 Depth=1
	v_subrev_f32_e32 v9, s11, v5
	s_mov_b32 s8, exec_lo
	s_delay_alu instid0(VALU_DEP_1) | instskip(NEXT) | instid1(VALU_DEP_1)
	v_fma_f32 v8, v8, v9, s10
	v_cmpx_lt_f32_e32 v4, v8
; %bb.12:                               ;   in Loop: Header=BB2_6 Depth=1
	v_cmp_eq_u32_e32 vcc_lo, 0, v7
	v_cndmask_b32_e64 v7, 0, 1, vcc_lo
; %bb.13:                               ;   in Loop: Header=BB2_6 Depth=1
	s_or_b32 exec_lo, exec_lo, s8
.LBB2_14:                               ;   in Loop: Header=BB2_6 Depth=1
	s_delay_alu instid0(SALU_CYCLE_1)
	s_or_b32 exec_lo, exec_lo, s1
	s_load_b64 s[8:9], s[12:13], 0x8
	v_cmp_ngt_f32_e64 s1, s11, v3
	s_waitcnt lgkmcnt(0)
	v_sub_f32_e64 v8, s10, s8
	v_sub_f32_e64 v9, s11, s9
	s_delay_alu instid0(VALU_DEP_1) | instskip(SKIP_1) | instid1(VALU_DEP_2)
	v_div_scale_f32 v10, null, v9, v9, v8
	v_div_scale_f32 v13, vcc_lo, v8, v9, v8
	v_rcp_f32_e32 v11, v10
	s_waitcnt_depctr 0xfff
	v_fma_f32 v12, -v10, v11, 1.0
	s_delay_alu instid0(VALU_DEP_1) | instskip(NEXT) | instid1(VALU_DEP_1)
	v_fmac_f32_e32 v11, v12, v11
	v_mul_f32_e32 v12, v13, v11
	s_delay_alu instid0(VALU_DEP_1) | instskip(NEXT) | instid1(VALU_DEP_1)
	v_fma_f32 v14, -v10, v12, v13
	v_fmac_f32_e32 v12, v14, v11
	s_delay_alu instid0(VALU_DEP_1) | instskip(NEXT) | instid1(VALU_DEP_1)
	v_fma_f32 v10, -v10, v12, v13
	v_div_fmas_f32 v10, v10, v11, v12
	v_cmp_gt_f32_e32 vcc_lo, s9, v3
	s_delay_alu instid0(VALU_DEP_2) | instskip(SKIP_1) | instid1(SALU_CYCLE_1)
	v_div_fixup_f32 v8, v10, v9, v8
	s_xor_b32 s1, vcc_lo, s1
	s_xor_b32 s10, s1, -1
	s_delay_alu instid0(SALU_CYCLE_1)
	s_and_saveexec_b32 s1, s10
	s_cbranch_execz .LBB2_18
; %bb.15:                               ;   in Loop: Header=BB2_6 Depth=1
	v_subrev_f32_e32 v9, s9, v3
	s_mov_b32 s10, exec_lo
	s_delay_alu instid0(VALU_DEP_1) | instskip(NEXT) | instid1(VALU_DEP_1)
	v_fma_f32 v9, v8, v9, s8
	v_cmpx_lt_f32_e32 v2, v9
; %bb.16:                               ;   in Loop: Header=BB2_6 Depth=1
	v_cmp_eq_u32_e32 vcc_lo, 0, v6
	v_cndmask_b32_e64 v6, 0, 1, vcc_lo
; %bb.17:                               ;   in Loop: Header=BB2_6 Depth=1
	s_or_b32 exec_lo, exec_lo, s10
.LBB2_18:                               ;   in Loop: Header=BB2_6 Depth=1
	s_delay_alu instid0(SALU_CYCLE_1) | instskip(SKIP_2) | instid1(VALU_DEP_1)
	s_or_b32 exec_lo, exec_lo, s1
	v_cmp_gt_f32_e32 vcc_lo, s9, v5
	v_cmp_ngt_f32_e64 s1, s11, v5
	s_xor_b32 s1, vcc_lo, s1
	s_delay_alu instid0(SALU_CYCLE_1) | instskip(NEXT) | instid1(SALU_CYCLE_1)
	s_xor_b32 s10, s1, -1
	s_and_saveexec_b32 s1, s10
	s_cbranch_execz .LBB2_5
; %bb.19:                               ;   in Loop: Header=BB2_6 Depth=1
	v_subrev_f32_e32 v9, s9, v5
	s_mov_b32 s10, exec_lo
	s_delay_alu instid0(VALU_DEP_1) | instskip(NEXT) | instid1(VALU_DEP_1)
	v_fma_f32 v8, v8, v9, s8
	v_cmpx_lt_f32_e32 v4, v8
	s_cbranch_execz .LBB2_4
; %bb.20:                               ;   in Loop: Header=BB2_6 Depth=1
	v_cmp_eq_u32_e32 vcc_lo, 0, v7
	v_cndmask_b32_e64 v7, 0, 1, vcc_lo
	s_branch .LBB2_4
.LBB2_21:
	v_lshlrev_b64 v[0:1], 2, v[0:1]
	s_delay_alu instid0(VALU_DEP_1) | instskip(NEXT) | instid1(VALU_DEP_2)
	v_add_co_u32 v0, vcc_lo, s4, v0
	v_add_co_ci_u32_e32 v1, vcc_lo, s5, v1, vcc_lo
	global_store_b32 v[0:1], v6, off
	s_and_b32 exec_lo, exec_lo, s0
	s_cbranch_execz .LBB2_23
; %bb.22:
	global_store_b32 v[0:1], v7, off offset:1024
.LBB2_23:
	s_nop 0
	s_sendmsg sendmsg(MSG_DEALLOC_VGPRS)
	s_endpgm
	.section	.rodata,"a",@progbits
	.p2align	6, 0x0
	.amdhsa_kernel _Z10pnpoly_optILi2EEvPiPK15HIP_vector_typeIfLj2EES4_i
		.amdhsa_group_segment_fixed_size 0
		.amdhsa_private_segment_fixed_size 0
		.amdhsa_kernarg_size 28
		.amdhsa_user_sgpr_count 15
		.amdhsa_user_sgpr_dispatch_ptr 0
		.amdhsa_user_sgpr_queue_ptr 0
		.amdhsa_user_sgpr_kernarg_segment_ptr 1
		.amdhsa_user_sgpr_dispatch_id 0
		.amdhsa_user_sgpr_private_segment_size 0
		.amdhsa_wavefront_size32 1
		.amdhsa_uses_dynamic_stack 0
		.amdhsa_enable_private_segment 0
		.amdhsa_system_sgpr_workgroup_id_x 1
		.amdhsa_system_sgpr_workgroup_id_y 0
		.amdhsa_system_sgpr_workgroup_id_z 0
		.amdhsa_system_sgpr_workgroup_info 0
		.amdhsa_system_vgpr_workitem_id 0
		.amdhsa_next_free_vgpr 15
		.amdhsa_next_free_sgpr 16
		.amdhsa_reserve_vcc 1
		.amdhsa_float_round_mode_32 0
		.amdhsa_float_round_mode_16_64 0
		.amdhsa_float_denorm_mode_32 3
		.amdhsa_float_denorm_mode_16_64 3
		.amdhsa_dx10_clamp 1
		.amdhsa_ieee_mode 1
		.amdhsa_fp16_overflow 0
		.amdhsa_workgroup_processor_mode 1
		.amdhsa_memory_ordered 1
		.amdhsa_forward_progress 0
		.amdhsa_shared_vgpr_count 0
		.amdhsa_exception_fp_ieee_invalid_op 0
		.amdhsa_exception_fp_denorm_src 0
		.amdhsa_exception_fp_ieee_div_zero 0
		.amdhsa_exception_fp_ieee_overflow 0
		.amdhsa_exception_fp_ieee_underflow 0
		.amdhsa_exception_fp_ieee_inexact 0
		.amdhsa_exception_int_div_zero 0
	.end_amdhsa_kernel
	.section	.text._Z10pnpoly_optILi2EEvPiPK15HIP_vector_typeIfLj2EES4_i,"axG",@progbits,_Z10pnpoly_optILi2EEvPiPK15HIP_vector_typeIfLj2EES4_i,comdat
.Lfunc_end2:
	.size	_Z10pnpoly_optILi2EEvPiPK15HIP_vector_typeIfLj2EES4_i, .Lfunc_end2-_Z10pnpoly_optILi2EEvPiPK15HIP_vector_typeIfLj2EES4_i
                                        ; -- End function
	.section	.AMDGPU.csdata,"",@progbits
; Kernel info:
; codeLenInByte = 840
; NumSgprs: 18
; NumVgprs: 15
; ScratchSize: 0
; MemoryBound: 0
; FloatMode: 240
; IeeeMode: 1
; LDSByteSize: 0 bytes/workgroup (compile time only)
; SGPRBlocks: 2
; VGPRBlocks: 1
; NumSGPRsForWavesPerEU: 18
; NumVGPRsForWavesPerEU: 15
; Occupancy: 16
; WaveLimiterHint : 0
; COMPUTE_PGM_RSRC2:SCRATCH_EN: 0
; COMPUTE_PGM_RSRC2:USER_SGPR: 15
; COMPUTE_PGM_RSRC2:TRAP_HANDLER: 0
; COMPUTE_PGM_RSRC2:TGID_X_EN: 1
; COMPUTE_PGM_RSRC2:TGID_Y_EN: 0
; COMPUTE_PGM_RSRC2:TGID_Z_EN: 0
; COMPUTE_PGM_RSRC2:TIDIG_COMP_CNT: 0
	.section	.text._Z10pnpoly_optILi4EEvPiPK15HIP_vector_typeIfLj2EES4_i,"axG",@progbits,_Z10pnpoly_optILi4EEvPiPK15HIP_vector_typeIfLj2EES4_i,comdat
	.protected	_Z10pnpoly_optILi4EEvPiPK15HIP_vector_typeIfLj2EES4_i ; -- Begin function _Z10pnpoly_optILi4EEvPiPK15HIP_vector_typeIfLj2EES4_i
	.globl	_Z10pnpoly_optILi4EEvPiPK15HIP_vector_typeIfLj2EES4_i
	.p2align	8
	.type	_Z10pnpoly_optILi4EEvPiPK15HIP_vector_typeIfLj2EES4_i,@function
_Z10pnpoly_optILi4EEvPiPK15HIP_vector_typeIfLj2EES4_i: ; @_Z10pnpoly_optILi4EEvPiPK15HIP_vector_typeIfLj2EES4_i
; %bb.0:
	s_load_b32 s8, s[0:1], 0x18
	v_lshl_or_b32 v4, s15, 10, v0
	s_mov_b32 s2, exec_lo
	s_waitcnt lgkmcnt(0)
	s_delay_alu instid0(VALU_DEP_1)
	v_cmpx_gt_i32_e64 s8, v4
	s_cbranch_execz .LBB3_30
; %bb.1:
	s_load_b64 s[2:3], s[0:1], 0x8
	v_ashrrev_i32_e32 v5, 31, v4
	v_add_nc_u32_e32 v2, 0x100, v4
                                        ; implicit-def: $vgpr9
	s_delay_alu instid0(VALU_DEP_2) | instskip(SKIP_1) | instid1(VALU_DEP_1)
	v_lshlrev_b64 v[0:1], 3, v[4:5]
	s_waitcnt lgkmcnt(0)
	v_add_co_u32 v0, vcc_lo, s2, v0
	s_delay_alu instid0(VALU_DEP_2)
	v_add_co_ci_u32_e32 v1, vcc_lo, s3, v1, vcc_lo
	v_cmp_gt_i32_e64 s2, s8, v2
	global_load_b64 v[6:7], v[0:1], off
	s_and_saveexec_b32 s3, s2
	s_cbranch_execz .LBB3_3
; %bb.2:
	global_load_b64 v[8:9], v[0:1], off offset:2048
.LBB3_3:
	s_or_b32 exec_lo, exec_lo, s3
	s_load_b64 s[4:5], s[0:1], 0x10
	v_add_nc_u32_e32 v2, 0x200, v4
                                        ; implicit-def: $vgpr11
	s_delay_alu instid0(VALU_DEP_1) | instskip(NEXT) | instid1(VALU_DEP_1)
	v_cmp_gt_i32_e64 s3, s8, v2
	s_and_saveexec_b32 s6, s3
	s_cbranch_execz .LBB3_5
; %bb.4:
	v_add_co_u32 v2, vcc_lo, 0x1000, v0
	v_add_co_ci_u32_e32 v3, vcc_lo, 0, v1, vcc_lo
	global_load_b64 v[10:11], v[2:3], off
.LBB3_5:
	s_or_b32 exec_lo, exec_lo, s6
	s_load_b64 s[6:7], s[0:1], 0x0
	v_add_nc_u32_e32 v2, 0x300, v4
                                        ; implicit-def: $vgpr13
	s_delay_alu instid0(VALU_DEP_1) | instskip(NEXT) | instid1(VALU_DEP_1)
	v_cmp_gt_i32_e64 s0, s8, v2
	s_and_saveexec_b32 s1, s0
	s_cbranch_execz .LBB3_7
; %bb.6:
	v_add_co_u32 v0, vcc_lo, 0x1000, v0
	v_add_co_ci_u32_e32 v1, vcc_lo, 0, v1, vcc_lo
	global_load_b64 v[12:13], v[0:1], off offset:2048
.LBB3_7:
	s_or_b32 exec_lo, exec_lo, s1
	s_waitcnt lgkmcnt(0)
	s_load_b64 s[12:13], s[4:5], 0x12b8
	s_mov_b32 s8, 0
	s_delay_alu instid0(SALU_CYCLE_1)
	s_mov_b32 s9, s8
	s_mov_b32 s10, s8
	;; [unrolled: 1-line block ×3, first 2 shown]
	v_dual_mov_b32 v0, s8 :: v_dual_mov_b32 v1, s9
	v_dual_mov_b32 v2, s10 :: v_dual_mov_b32 v3, s11
	s_mov_b64 s[8:9], 0
	s_waitcnt lgkmcnt(0)
	s_mov_b32 s10, s12
.LBB3_8:                                ; =>This Inner Loop Header: Depth=1
	s_add_u32 s14, s4, s8
	s_addc_u32 s15, s5, s9
	s_mov_b32 s1, s10
	s_load_b64 s[10:11], s[14:15], 0x0
	s_waitcnt lgkmcnt(0)
	v_sub_f32_e64 v14, s1, s10
	v_sub_f32_e64 v15, s13, s11
	s_waitcnt vmcnt(0)
	v_cmp_ngt_f32_e64 s1, s13, v7
	s_delay_alu instid0(VALU_DEP_2) | instskip(SKIP_1) | instid1(VALU_DEP_2)
	v_div_scale_f32 v16, null, v15, v15, v14
	v_div_scale_f32 v19, vcc_lo, v14, v15, v14
	v_rcp_f32_e32 v17, v16
	s_waitcnt_depctr 0xfff
	v_fma_f32 v18, -v16, v17, 1.0
	s_delay_alu instid0(VALU_DEP_1) | instskip(NEXT) | instid1(VALU_DEP_1)
	v_fmac_f32_e32 v17, v18, v17
	v_mul_f32_e32 v18, v19, v17
	s_delay_alu instid0(VALU_DEP_1) | instskip(NEXT) | instid1(VALU_DEP_1)
	v_fma_f32 v20, -v16, v18, v19
	v_fmac_f32_e32 v18, v20, v17
	s_delay_alu instid0(VALU_DEP_1) | instskip(NEXT) | instid1(VALU_DEP_1)
	v_fma_f32 v16, -v16, v18, v19
	v_div_fmas_f32 v16, v16, v17, v18
	v_cmp_gt_f32_e32 vcc_lo, s11, v7
	s_delay_alu instid0(VALU_DEP_2) | instskip(SKIP_1) | instid1(SALU_CYCLE_1)
	v_div_fixup_f32 v14, v16, v15, v14
	s_xor_b32 s1, vcc_lo, s1
	s_xor_b32 s12, s1, -1
	s_delay_alu instid0(SALU_CYCLE_1)
	s_and_saveexec_b32 s1, s12
	s_cbranch_execz .LBB3_12
; %bb.9:                                ;   in Loop: Header=BB3_8 Depth=1
	v_subrev_f32_e32 v15, s11, v7
	s_mov_b32 s12, exec_lo
	s_delay_alu instid0(VALU_DEP_1) | instskip(NEXT) | instid1(VALU_DEP_1)
	v_fma_f32 v15, v14, v15, s10
	v_cmpx_lt_f32_e32 v6, v15
; %bb.10:                               ;   in Loop: Header=BB3_8 Depth=1
	v_cmp_eq_u32_e32 vcc_lo, 0, v0
	v_cndmask_b32_e64 v0, 0, 1, vcc_lo
; %bb.11:                               ;   in Loop: Header=BB3_8 Depth=1
	s_or_b32 exec_lo, exec_lo, s12
.LBB3_12:                               ;   in Loop: Header=BB3_8 Depth=1
	s_delay_alu instid0(SALU_CYCLE_1) | instskip(SKIP_2) | instid1(VALU_DEP_1)
	s_or_b32 exec_lo, exec_lo, s1
	v_cmp_gt_f32_e32 vcc_lo, s11, v9
	v_cmp_ngt_f32_e64 s1, s13, v9
	s_xor_b32 s1, vcc_lo, s1
	s_delay_alu instid0(SALU_CYCLE_1) | instskip(NEXT) | instid1(SALU_CYCLE_1)
	s_xor_b32 s12, s1, -1
	s_and_saveexec_b32 s1, s12
	s_cbranch_execz .LBB3_16
; %bb.13:                               ;   in Loop: Header=BB3_8 Depth=1
	v_subrev_f32_e32 v15, s11, v9
	s_mov_b32 s12, exec_lo
	s_delay_alu instid0(VALU_DEP_1) | instskip(NEXT) | instid1(VALU_DEP_1)
	v_fma_f32 v15, v14, v15, s10
	v_cmpx_lt_f32_e32 v8, v15
; %bb.14:                               ;   in Loop: Header=BB3_8 Depth=1
	v_cmp_eq_u32_e32 vcc_lo, 0, v1
	v_cndmask_b32_e64 v1, 0, 1, vcc_lo
; %bb.15:                               ;   in Loop: Header=BB3_8 Depth=1
	s_or_b32 exec_lo, exec_lo, s12
.LBB3_16:                               ;   in Loop: Header=BB3_8 Depth=1
	s_delay_alu instid0(SALU_CYCLE_1) | instskip(SKIP_2) | instid1(VALU_DEP_1)
	s_or_b32 exec_lo, exec_lo, s1
	v_cmp_gt_f32_e32 vcc_lo, s11, v11
	v_cmp_ngt_f32_e64 s1, s13, v11
	s_xor_b32 s1, vcc_lo, s1
	s_delay_alu instid0(SALU_CYCLE_1) | instskip(NEXT) | instid1(SALU_CYCLE_1)
	s_xor_b32 s12, s1, -1
	s_and_saveexec_b32 s1, s12
	s_cbranch_execz .LBB3_20
; %bb.17:                               ;   in Loop: Header=BB3_8 Depth=1
	v_subrev_f32_e32 v15, s11, v11
	s_mov_b32 s12, exec_lo
	s_delay_alu instid0(VALU_DEP_1) | instskip(NEXT) | instid1(VALU_DEP_1)
	v_fma_f32 v15, v14, v15, s10
	v_cmpx_lt_f32_e32 v10, v15
; %bb.18:                               ;   in Loop: Header=BB3_8 Depth=1
	v_cmp_eq_u32_e32 vcc_lo, 0, v2
	v_cndmask_b32_e64 v2, 0, 1, vcc_lo
; %bb.19:                               ;   in Loop: Header=BB3_8 Depth=1
	s_or_b32 exec_lo, exec_lo, s12
.LBB3_20:                               ;   in Loop: Header=BB3_8 Depth=1
	;; [unrolled: 21-line block ×3, first 2 shown]
	s_delay_alu instid0(SALU_CYCLE_1)
	s_or_b32 exec_lo, exec_lo, s1
	s_add_u32 s8, s8, 8
	s_addc_u32 s9, s9, 0
	s_cmpk_lg_i32 s8, 0x12c0
	s_cbranch_scc0 .LBB3_26
; %bb.25:                               ;   in Loop: Header=BB3_8 Depth=1
	s_mov_b32 s13, s11
	s_branch .LBB3_8
.LBB3_26:
	v_lshlrev_b64 v[4:5], 2, v[4:5]
	s_delay_alu instid0(VALU_DEP_1) | instskip(NEXT) | instid1(VALU_DEP_2)
	v_add_co_u32 v4, vcc_lo, s6, v4
	v_add_co_ci_u32_e32 v5, vcc_lo, s7, v5, vcc_lo
	global_store_b32 v[4:5], v0, off
	s_and_saveexec_b32 s1, s2
	s_cbranch_execnz .LBB3_31
; %bb.27:
	s_or_b32 exec_lo, exec_lo, s1
	s_and_saveexec_b32 s1, s3
	s_cbranch_execnz .LBB3_32
.LBB3_28:
	s_or_b32 exec_lo, exec_lo, s1
	s_delay_alu instid0(SALU_CYCLE_1)
	s_and_b32 exec_lo, exec_lo, s0
	s_cbranch_execz .LBB3_30
.LBB3_29:
	global_store_b32 v[4:5], v3, off offset:3072
.LBB3_30:
	s_nop 0
	s_sendmsg sendmsg(MSG_DEALLOC_VGPRS)
	s_endpgm
.LBB3_31:
	global_store_b32 v[4:5], v1, off offset:1024
	s_or_b32 exec_lo, exec_lo, s1
	s_and_saveexec_b32 s1, s3
	s_cbranch_execz .LBB3_28
.LBB3_32:
	global_store_b32 v[4:5], v2, off offset:2048
	s_or_b32 exec_lo, exec_lo, s1
	s_delay_alu instid0(SALU_CYCLE_1)
	s_and_b32 exec_lo, exec_lo, s0
	s_cbranch_execnz .LBB3_29
	s_branch .LBB3_30
	.section	.rodata,"a",@progbits
	.p2align	6, 0x0
	.amdhsa_kernel _Z10pnpoly_optILi4EEvPiPK15HIP_vector_typeIfLj2EES4_i
		.amdhsa_group_segment_fixed_size 0
		.amdhsa_private_segment_fixed_size 0
		.amdhsa_kernarg_size 28
		.amdhsa_user_sgpr_count 15
		.amdhsa_user_sgpr_dispatch_ptr 0
		.amdhsa_user_sgpr_queue_ptr 0
		.amdhsa_user_sgpr_kernarg_segment_ptr 1
		.amdhsa_user_sgpr_dispatch_id 0
		.amdhsa_user_sgpr_private_segment_size 0
		.amdhsa_wavefront_size32 1
		.amdhsa_uses_dynamic_stack 0
		.amdhsa_enable_private_segment 0
		.amdhsa_system_sgpr_workgroup_id_x 1
		.amdhsa_system_sgpr_workgroup_id_y 0
		.amdhsa_system_sgpr_workgroup_id_z 0
		.amdhsa_system_sgpr_workgroup_info 0
		.amdhsa_system_vgpr_workitem_id 0
		.amdhsa_next_free_vgpr 21
		.amdhsa_next_free_sgpr 16
		.amdhsa_reserve_vcc 1
		.amdhsa_float_round_mode_32 0
		.amdhsa_float_round_mode_16_64 0
		.amdhsa_float_denorm_mode_32 3
		.amdhsa_float_denorm_mode_16_64 3
		.amdhsa_dx10_clamp 1
		.amdhsa_ieee_mode 1
		.amdhsa_fp16_overflow 0
		.amdhsa_workgroup_processor_mode 1
		.amdhsa_memory_ordered 1
		.amdhsa_forward_progress 0
		.amdhsa_shared_vgpr_count 0
		.amdhsa_exception_fp_ieee_invalid_op 0
		.amdhsa_exception_fp_denorm_src 0
		.amdhsa_exception_fp_ieee_div_zero 0
		.amdhsa_exception_fp_ieee_overflow 0
		.amdhsa_exception_fp_ieee_underflow 0
		.amdhsa_exception_fp_ieee_inexact 0
		.amdhsa_exception_int_div_zero 0
	.end_amdhsa_kernel
	.section	.text._Z10pnpoly_optILi4EEvPiPK15HIP_vector_typeIfLj2EES4_i,"axG",@progbits,_Z10pnpoly_optILi4EEvPiPK15HIP_vector_typeIfLj2EES4_i,comdat
.Lfunc_end3:
	.size	_Z10pnpoly_optILi4EEvPiPK15HIP_vector_typeIfLj2EES4_i, .Lfunc_end3-_Z10pnpoly_optILi4EEvPiPK15HIP_vector_typeIfLj2EES4_i
                                        ; -- End function
	.section	.AMDGPU.csdata,"",@progbits
; Kernel info:
; codeLenInByte = 936
; NumSgprs: 18
; NumVgprs: 21
; ScratchSize: 0
; MemoryBound: 0
; FloatMode: 240
; IeeeMode: 1
; LDSByteSize: 0 bytes/workgroup (compile time only)
; SGPRBlocks: 2
; VGPRBlocks: 2
; NumSGPRsForWavesPerEU: 18
; NumVGPRsForWavesPerEU: 21
; Occupancy: 16
; WaveLimiterHint : 0
; COMPUTE_PGM_RSRC2:SCRATCH_EN: 0
; COMPUTE_PGM_RSRC2:USER_SGPR: 15
; COMPUTE_PGM_RSRC2:TRAP_HANDLER: 0
; COMPUTE_PGM_RSRC2:TGID_X_EN: 1
; COMPUTE_PGM_RSRC2:TGID_Y_EN: 0
; COMPUTE_PGM_RSRC2:TGID_Z_EN: 0
; COMPUTE_PGM_RSRC2:TIDIG_COMP_CNT: 0
	.section	.text._Z10pnpoly_optILi8EEvPiPK15HIP_vector_typeIfLj2EES4_i,"axG",@progbits,_Z10pnpoly_optILi8EEvPiPK15HIP_vector_typeIfLj2EES4_i,comdat
	.protected	_Z10pnpoly_optILi8EEvPiPK15HIP_vector_typeIfLj2EES4_i ; -- Begin function _Z10pnpoly_optILi8EEvPiPK15HIP_vector_typeIfLj2EES4_i
	.globl	_Z10pnpoly_optILi8EEvPiPK15HIP_vector_typeIfLj2EES4_i
	.p2align	8
	.type	_Z10pnpoly_optILi8EEvPiPK15HIP_vector_typeIfLj2EES4_i,@function
_Z10pnpoly_optILi8EEvPiPK15HIP_vector_typeIfLj2EES4_i: ; @_Z10pnpoly_optILi8EEvPiPK15HIP_vector_typeIfLj2EES4_i
; %bb.0:
	s_load_b32 s12, s[0:1], 0x18
	v_lshl_or_b32 v8, s15, 11, v0
	s_mov_b32 s2, exec_lo
	s_waitcnt lgkmcnt(0)
	s_delay_alu instid0(VALU_DEP_1)
	v_cmpx_gt_i32_e64 s12, v8
	s_cbranch_execz .LBB4_58
; %bb.1:
	s_load_b64 s[6:7], s[0:1], 0x8
	v_ashrrev_i32_e32 v9, 31, v8
	v_add_nc_u32_e32 v2, 0x100, v8
                                        ; implicit-def: $vgpr13
	s_delay_alu instid0(VALU_DEP_2) | instskip(NEXT) | instid1(VALU_DEP_2)
	v_lshlrev_b64 v[0:1], 3, v[8:9]
	v_cmp_gt_i32_e64 s2, s12, v2
	s_waitcnt lgkmcnt(0)
	s_delay_alu instid0(VALU_DEP_2) | instskip(NEXT) | instid1(VALU_DEP_3)
	v_add_co_u32 v0, vcc_lo, s6, v0
	v_add_co_ci_u32_e32 v1, vcc_lo, s7, v1, vcc_lo
	global_load_b64 v[10:11], v[0:1], off
	s_and_saveexec_b32 s3, s2
	s_cbranch_execz .LBB4_3
; %bb.2:
	global_load_b64 v[12:13], v[0:1], off offset:2048
.LBB4_3:
	s_or_b32 exec_lo, exec_lo, s3
	v_add_nc_u32_e32 v2, 0x200, v8
                                        ; implicit-def: $vgpr17
	s_delay_alu instid0(VALU_DEP_1) | instskip(NEXT) | instid1(VALU_DEP_1)
	v_cmp_gt_i32_e64 s3, s12, v2
	s_and_saveexec_b32 s4, s3
	s_cbranch_execz .LBB4_5
; %bb.4:
	v_add_co_u32 v2, vcc_lo, 0x1000, v0
	v_add_co_ci_u32_e32 v3, vcc_lo, 0, v1, vcc_lo
	global_load_b64 v[16:17], v[2:3], off
.LBB4_5:
	s_or_b32 exec_lo, exec_lo, s4
	v_add_nc_u32_e32 v2, 0x300, v8
                                        ; implicit-def: $vgpr19
	s_delay_alu instid0(VALU_DEP_1) | instskip(NEXT) | instid1(VALU_DEP_1)
	v_cmp_gt_i32_e64 s4, s12, v2
	s_and_saveexec_b32 s5, s4
	s_cbranch_execz .LBB4_7
; %bb.6:
	v_add_co_u32 v2, vcc_lo, 0x1000, v0
	v_add_co_ci_u32_e32 v3, vcc_lo, 0, v1, vcc_lo
	global_load_b64 v[18:19], v[2:3], off offset:2048
.LBB4_7:
	s_or_b32 exec_lo, exec_lo, s5
	v_or_b32_e32 v14, 0x400, v8
                                        ; implicit-def: $vgpr21
	s_delay_alu instid0(VALU_DEP_1) | instskip(SKIP_1) | instid1(VALU_DEP_2)
	v_cmp_gt_i32_e64 s5, s12, v14
	v_ashrrev_i32_e32 v15, 31, v14
	s_and_saveexec_b32 s8, s5
	s_cbranch_execz .LBB4_9
; %bb.8:
	s_delay_alu instid0(VALU_DEP_1) | instskip(NEXT) | instid1(VALU_DEP_1)
	v_lshlrev_b64 v[2:3], 3, v[14:15]
	v_add_co_u32 v2, vcc_lo, s6, v2
	s_delay_alu instid0(VALU_DEP_2)
	v_add_co_ci_u32_e32 v3, vcc_lo, s7, v3, vcc_lo
	global_load_b64 v[20:21], v[2:3], off
.LBB4_9:
	s_or_b32 exec_lo, exec_lo, s8
	v_add_nc_u32_e32 v2, 0x500, v8
                                        ; implicit-def: $vgpr23
	s_delay_alu instid0(VALU_DEP_1) | instskip(NEXT) | instid1(VALU_DEP_1)
	v_cmp_gt_i32_e64 s6, s12, v2
	s_and_saveexec_b32 s7, s6
	s_cbranch_execz .LBB4_11
; %bb.10:
	v_add_co_u32 v2, vcc_lo, 0x2000, v0
	v_add_co_ci_u32_e32 v3, vcc_lo, 0, v1, vcc_lo
	global_load_b64 v[22:23], v[2:3], off offset:2048
.LBB4_11:
	s_or_b32 exec_lo, exec_lo, s7
	s_load_b64 s[10:11], s[0:1], 0x10
	v_add_nc_u32_e32 v2, 0x600, v8
                                        ; implicit-def: $vgpr25
	s_delay_alu instid0(VALU_DEP_1) | instskip(NEXT) | instid1(VALU_DEP_1)
	v_cmp_gt_i32_e64 s7, s12, v2
	s_and_saveexec_b32 s8, s7
	s_cbranch_execz .LBB4_13
; %bb.12:
	v_add_co_u32 v2, vcc_lo, 0x3000, v0
	v_add_co_ci_u32_e32 v3, vcc_lo, 0, v1, vcc_lo
	global_load_b64 v[24:25], v[2:3], off
.LBB4_13:
	s_or_b32 exec_lo, exec_lo, s8
	s_load_b64 s[8:9], s[0:1], 0x0
	v_add_nc_u32_e32 v2, 0x700, v8
                                        ; implicit-def: $vgpr27
	s_delay_alu instid0(VALU_DEP_1) | instskip(NEXT) | instid1(VALU_DEP_1)
	v_cmp_gt_i32_e64 s0, s12, v2
	s_and_saveexec_b32 s1, s0
	s_cbranch_execz .LBB4_15
; %bb.14:
	v_add_co_u32 v0, vcc_lo, 0x3000, v0
	v_add_co_ci_u32_e32 v1, vcc_lo, 0, v1, vcc_lo
	global_load_b64 v[26:27], v[0:1], off offset:2048
.LBB4_15:
	s_or_b32 exec_lo, exec_lo, s1
	s_waitcnt lgkmcnt(0)
	s_load_b64 s[16:17], s[10:11], 0x12b8
	s_mov_b32 s20, 0
	s_mov_b64 s[12:13], 0
	s_mov_b32 s21, s20
	s_mov_b32 s22, s20
	s_mov_b32 s23, s20
	s_mov_b32 s24, s20
	s_mov_b32 s25, s20
	s_mov_b32 s26, s20
	s_mov_b32 s27, s20
	v_dual_mov_b32 v0, s20 :: v_dual_mov_b32 v1, s21
	v_dual_mov_b32 v2, s22 :: v_dual_mov_b32 v3, s23
	;; [unrolled: 1-line block ×4, first 2 shown]
	s_waitcnt lgkmcnt(0)
	s_mov_b32 s14, s16
.LBB4_16:                               ; =>This Inner Loop Header: Depth=1
	s_add_u32 s18, s10, s12
	s_addc_u32 s19, s11, s13
	s_mov_b32 s1, s14
	s_load_b64 s[14:15], s[18:19], 0x0
	s_waitcnt lgkmcnt(0)
	v_sub_f32_e64 v28, s1, s14
	v_sub_f32_e64 v29, s17, s15
	s_waitcnt vmcnt(0)
	v_cmp_ngt_f32_e64 s1, s17, v11
	s_delay_alu instid0(VALU_DEP_2) | instskip(SKIP_1) | instid1(VALU_DEP_2)
	v_div_scale_f32 v30, null, v29, v29, v28
	v_div_scale_f32 v33, vcc_lo, v28, v29, v28
	v_rcp_f32_e32 v31, v30
	s_waitcnt_depctr 0xfff
	v_fma_f32 v32, -v30, v31, 1.0
	s_delay_alu instid0(VALU_DEP_1) | instskip(NEXT) | instid1(VALU_DEP_1)
	v_fmac_f32_e32 v31, v32, v31
	v_mul_f32_e32 v32, v33, v31
	s_delay_alu instid0(VALU_DEP_1) | instskip(NEXT) | instid1(VALU_DEP_1)
	v_fma_f32 v34, -v30, v32, v33
	v_fmac_f32_e32 v32, v34, v31
	s_delay_alu instid0(VALU_DEP_1) | instskip(NEXT) | instid1(VALU_DEP_1)
	v_fma_f32 v30, -v30, v32, v33
	v_div_fmas_f32 v30, v30, v31, v32
	v_cmp_gt_f32_e32 vcc_lo, s15, v11
	s_delay_alu instid0(VALU_DEP_2) | instskip(SKIP_1) | instid1(SALU_CYCLE_1)
	v_div_fixup_f32 v28, v30, v29, v28
	s_xor_b32 s1, vcc_lo, s1
	s_xor_b32 s16, s1, -1
	s_delay_alu instid0(SALU_CYCLE_1)
	s_and_saveexec_b32 s1, s16
	s_cbranch_execz .LBB4_20
; %bb.17:                               ;   in Loop: Header=BB4_16 Depth=1
	v_subrev_f32_e32 v29, s15, v11
	s_mov_b32 s16, exec_lo
	s_delay_alu instid0(VALU_DEP_1) | instskip(NEXT) | instid1(VALU_DEP_1)
	v_fma_f32 v29, v28, v29, s14
	v_cmpx_lt_f32_e32 v10, v29
; %bb.18:                               ;   in Loop: Header=BB4_16 Depth=1
	v_cmp_eq_u32_e32 vcc_lo, 0, v0
	v_cndmask_b32_e64 v0, 0, 1, vcc_lo
; %bb.19:                               ;   in Loop: Header=BB4_16 Depth=1
	s_or_b32 exec_lo, exec_lo, s16
.LBB4_20:                               ;   in Loop: Header=BB4_16 Depth=1
	s_delay_alu instid0(SALU_CYCLE_1) | instskip(SKIP_2) | instid1(VALU_DEP_1)
	s_or_b32 exec_lo, exec_lo, s1
	v_cmp_gt_f32_e32 vcc_lo, s15, v13
	v_cmp_ngt_f32_e64 s1, s17, v13
	s_xor_b32 s1, vcc_lo, s1
	s_delay_alu instid0(SALU_CYCLE_1) | instskip(NEXT) | instid1(SALU_CYCLE_1)
	s_xor_b32 s16, s1, -1
	s_and_saveexec_b32 s1, s16
	s_cbranch_execz .LBB4_24
; %bb.21:                               ;   in Loop: Header=BB4_16 Depth=1
	v_subrev_f32_e32 v29, s15, v13
	s_mov_b32 s16, exec_lo
	s_delay_alu instid0(VALU_DEP_1) | instskip(NEXT) | instid1(VALU_DEP_1)
	v_fma_f32 v29, v28, v29, s14
	v_cmpx_lt_f32_e32 v12, v29
; %bb.22:                               ;   in Loop: Header=BB4_16 Depth=1
	v_cmp_eq_u32_e32 vcc_lo, 0, v1
	v_cndmask_b32_e64 v1, 0, 1, vcc_lo
; %bb.23:                               ;   in Loop: Header=BB4_16 Depth=1
	s_or_b32 exec_lo, exec_lo, s16
.LBB4_24:                               ;   in Loop: Header=BB4_16 Depth=1
	s_delay_alu instid0(SALU_CYCLE_1) | instskip(SKIP_2) | instid1(VALU_DEP_1)
	s_or_b32 exec_lo, exec_lo, s1
	v_cmp_gt_f32_e32 vcc_lo, s15, v17
	v_cmp_ngt_f32_e64 s1, s17, v17
	s_xor_b32 s1, vcc_lo, s1
	s_delay_alu instid0(SALU_CYCLE_1) | instskip(NEXT) | instid1(SALU_CYCLE_1)
	s_xor_b32 s16, s1, -1
	;; [unrolled: 21-line block ×7, first 2 shown]
	s_and_saveexec_b32 s1, s16
	s_cbranch_execz .LBB4_48
; %bb.45:                               ;   in Loop: Header=BB4_16 Depth=1
	v_subrev_f32_e32 v29, s15, v27
	s_mov_b32 s16, exec_lo
	s_delay_alu instid0(VALU_DEP_1) | instskip(NEXT) | instid1(VALU_DEP_1)
	v_fma_f32 v28, v28, v29, s14
	v_cmpx_lt_f32_e32 v26, v28
; %bb.46:                               ;   in Loop: Header=BB4_16 Depth=1
	v_cmp_eq_u32_e32 vcc_lo, 0, v7
	v_cndmask_b32_e64 v7, 0, 1, vcc_lo
; %bb.47:                               ;   in Loop: Header=BB4_16 Depth=1
	s_or_b32 exec_lo, exec_lo, s16
.LBB4_48:                               ;   in Loop: Header=BB4_16 Depth=1
	s_delay_alu instid0(SALU_CYCLE_1)
	s_or_b32 exec_lo, exec_lo, s1
	s_add_u32 s12, s12, 8
	s_addc_u32 s13, s13, 0
	s_cmpk_lg_i32 s12, 0x12c0
	s_cbranch_scc0 .LBB4_50
; %bb.49:                               ;   in Loop: Header=BB4_16 Depth=1
	s_mov_b32 s17, s15
	s_branch .LBB4_16
.LBB4_50:
	v_lshlrev_b64 v[8:9], 2, v[8:9]
	s_delay_alu instid0(VALU_DEP_1) | instskip(NEXT) | instid1(VALU_DEP_2)
	v_add_co_u32 v8, vcc_lo, s8, v8
	v_add_co_ci_u32_e32 v9, vcc_lo, s9, v9, vcc_lo
	global_store_b32 v[8:9], v0, off
	s_and_saveexec_b32 s1, s2
	s_cbranch_execnz .LBB4_59
; %bb.51:
	s_or_b32 exec_lo, exec_lo, s1
	s_and_saveexec_b32 s1, s3
	s_cbranch_execnz .LBB4_60
.LBB4_52:
	s_or_b32 exec_lo, exec_lo, s1
	s_and_saveexec_b32 s1, s4
	s_cbranch_execnz .LBB4_61
.LBB4_53:
	s_or_b32 exec_lo, exec_lo, s1
	s_and_saveexec_b32 s1, s5
	s_cbranch_execnz .LBB4_62
.LBB4_54:
	s_or_b32 exec_lo, exec_lo, s1
	s_and_saveexec_b32 s1, s6
	s_cbranch_execnz .LBB4_63
.LBB4_55:
	s_or_b32 exec_lo, exec_lo, s1
	s_and_saveexec_b32 s1, s7
	s_cbranch_execnz .LBB4_64
.LBB4_56:
	s_or_b32 exec_lo, exec_lo, s1
	s_delay_alu instid0(SALU_CYCLE_1)
	s_and_b32 exec_lo, exec_lo, s0
	s_cbranch_execz .LBB4_58
.LBB4_57:
	v_add_co_u32 v0, vcc_lo, 0x1000, v8
	v_add_co_ci_u32_e32 v1, vcc_lo, 0, v9, vcc_lo
	global_store_b32 v[0:1], v7, off offset:3072
.LBB4_58:
	s_nop 0
	s_sendmsg sendmsg(MSG_DEALLOC_VGPRS)
	s_endpgm
.LBB4_59:
	global_store_b32 v[8:9], v1, off offset:1024
	s_or_b32 exec_lo, exec_lo, s1
	s_and_saveexec_b32 s1, s3
	s_cbranch_execz .LBB4_52
.LBB4_60:
	global_store_b32 v[8:9], v2, off offset:2048
	s_or_b32 exec_lo, exec_lo, s1
	s_and_saveexec_b32 s1, s4
	s_cbranch_execz .LBB4_53
.LBB4_61:
	global_store_b32 v[8:9], v3, off offset:3072
	s_or_b32 exec_lo, exec_lo, s1
	s_and_saveexec_b32 s1, s5
	s_cbranch_execz .LBB4_54
.LBB4_62:
	v_lshlrev_b64 v[0:1], 2, v[14:15]
	s_delay_alu instid0(VALU_DEP_1) | instskip(NEXT) | instid1(VALU_DEP_2)
	v_add_co_u32 v0, vcc_lo, s8, v0
	v_add_co_ci_u32_e32 v1, vcc_lo, s9, v1, vcc_lo
	global_store_b32 v[0:1], v4, off
	s_or_b32 exec_lo, exec_lo, s1
	s_and_saveexec_b32 s1, s6
	s_cbranch_execz .LBB4_55
.LBB4_63:
	v_add_co_u32 v0, vcc_lo, 0x1000, v8
	v_add_co_ci_u32_e32 v1, vcc_lo, 0, v9, vcc_lo
	global_store_b32 v[0:1], v5, off offset:1024
	s_or_b32 exec_lo, exec_lo, s1
	s_and_saveexec_b32 s1, s7
	s_cbranch_execz .LBB4_56
.LBB4_64:
	v_add_co_u32 v0, vcc_lo, 0x1000, v8
	v_add_co_ci_u32_e32 v1, vcc_lo, 0, v9, vcc_lo
	global_store_b32 v[0:1], v6, off offset:2048
	s_or_b32 exec_lo, exec_lo, s1
	s_delay_alu instid0(SALU_CYCLE_1)
	s_and_b32 exec_lo, exec_lo, s0
	s_cbranch_execnz .LBB4_57
	s_branch .LBB4_58
	.section	.rodata,"a",@progbits
	.p2align	6, 0x0
	.amdhsa_kernel _Z10pnpoly_optILi8EEvPiPK15HIP_vector_typeIfLj2EES4_i
		.amdhsa_group_segment_fixed_size 0
		.amdhsa_private_segment_fixed_size 0
		.amdhsa_kernarg_size 28
		.amdhsa_user_sgpr_count 15
		.amdhsa_user_sgpr_dispatch_ptr 0
		.amdhsa_user_sgpr_queue_ptr 0
		.amdhsa_user_sgpr_kernarg_segment_ptr 1
		.amdhsa_user_sgpr_dispatch_id 0
		.amdhsa_user_sgpr_private_segment_size 0
		.amdhsa_wavefront_size32 1
		.amdhsa_uses_dynamic_stack 0
		.amdhsa_enable_private_segment 0
		.amdhsa_system_sgpr_workgroup_id_x 1
		.amdhsa_system_sgpr_workgroup_id_y 0
		.amdhsa_system_sgpr_workgroup_id_z 0
		.amdhsa_system_sgpr_workgroup_info 0
		.amdhsa_system_vgpr_workitem_id 0
		.amdhsa_next_free_vgpr 35
		.amdhsa_next_free_sgpr 28
		.amdhsa_reserve_vcc 1
		.amdhsa_float_round_mode_32 0
		.amdhsa_float_round_mode_16_64 0
		.amdhsa_float_denorm_mode_32 3
		.amdhsa_float_denorm_mode_16_64 3
		.amdhsa_dx10_clamp 1
		.amdhsa_ieee_mode 1
		.amdhsa_fp16_overflow 0
		.amdhsa_workgroup_processor_mode 1
		.amdhsa_memory_ordered 1
		.amdhsa_forward_progress 0
		.amdhsa_shared_vgpr_count 0
		.amdhsa_exception_fp_ieee_invalid_op 0
		.amdhsa_exception_fp_denorm_src 0
		.amdhsa_exception_fp_ieee_div_zero 0
		.amdhsa_exception_fp_ieee_overflow 0
		.amdhsa_exception_fp_ieee_underflow 0
		.amdhsa_exception_fp_ieee_inexact 0
		.amdhsa_exception_int_div_zero 0
	.end_amdhsa_kernel
	.section	.text._Z10pnpoly_optILi8EEvPiPK15HIP_vector_typeIfLj2EES4_i,"axG",@progbits,_Z10pnpoly_optILi8EEvPiPK15HIP_vector_typeIfLj2EES4_i,comdat
.Lfunc_end4:
	.size	_Z10pnpoly_optILi8EEvPiPK15HIP_vector_typeIfLj2EES4_i, .Lfunc_end4-_Z10pnpoly_optILi8EEvPiPK15HIP_vector_typeIfLj2EES4_i
                                        ; -- End function
	.section	.AMDGPU.csdata,"",@progbits
; Kernel info:
; codeLenInByte = 1724
; NumSgprs: 30
; NumVgprs: 35
; ScratchSize: 0
; MemoryBound: 0
; FloatMode: 240
; IeeeMode: 1
; LDSByteSize: 0 bytes/workgroup (compile time only)
; SGPRBlocks: 3
; VGPRBlocks: 4
; NumSGPRsForWavesPerEU: 30
; NumVGPRsForWavesPerEU: 35
; Occupancy: 16
; WaveLimiterHint : 0
; COMPUTE_PGM_RSRC2:SCRATCH_EN: 0
; COMPUTE_PGM_RSRC2:USER_SGPR: 15
; COMPUTE_PGM_RSRC2:TRAP_HANDLER: 0
; COMPUTE_PGM_RSRC2:TGID_X_EN: 1
; COMPUTE_PGM_RSRC2:TGID_Y_EN: 0
; COMPUTE_PGM_RSRC2:TGID_Z_EN: 0
; COMPUTE_PGM_RSRC2:TIDIG_COMP_CNT: 0
	.section	.text._Z10pnpoly_optILi16EEvPiPK15HIP_vector_typeIfLj2EES4_i,"axG",@progbits,_Z10pnpoly_optILi16EEvPiPK15HIP_vector_typeIfLj2EES4_i,comdat
	.protected	_Z10pnpoly_optILi16EEvPiPK15HIP_vector_typeIfLj2EES4_i ; -- Begin function _Z10pnpoly_optILi16EEvPiPK15HIP_vector_typeIfLj2EES4_i
	.globl	_Z10pnpoly_optILi16EEvPiPK15HIP_vector_typeIfLj2EES4_i
	.p2align	8
	.type	_Z10pnpoly_optILi16EEvPiPK15HIP_vector_typeIfLj2EES4_i,@function
_Z10pnpoly_optILi16EEvPiPK15HIP_vector_typeIfLj2EES4_i: ; @_Z10pnpoly_optILi16EEvPiPK15HIP_vector_typeIfLj2EES4_i
; %bb.0:
	s_load_b32 s16, s[0:1], 0x18
	v_lshl_or_b32 v16, s15, 12, v0
	s_mov_b32 s2, exec_lo
	s_waitcnt lgkmcnt(0)
	s_delay_alu instid0(VALU_DEP_1)
	v_cmpx_gt_i32_e64 s16, v16
	s_cbranch_execz .LBB5_114
; %bb.1:
	s_load_b64 s[14:15], s[0:1], 0x8
	v_ashrrev_i32_e32 v17, 31, v16
	v_add_nc_u32_e32 v2, 0x100, v16
                                        ; implicit-def: $vgpr21
	s_delay_alu instid0(VALU_DEP_2) | instskip(NEXT) | instid1(VALU_DEP_2)
	v_lshlrev_b64 v[0:1], 3, v[16:17]
	v_cmp_gt_i32_e64 s2, s16, v2
	s_waitcnt lgkmcnt(0)
	s_delay_alu instid0(VALU_DEP_2) | instskip(NEXT) | instid1(VALU_DEP_3)
	v_add_co_u32 v0, vcc_lo, s14, v0
	v_add_co_ci_u32_e32 v1, vcc_lo, s15, v1, vcc_lo
	global_load_b64 v[18:19], v[0:1], off
	s_and_saveexec_b32 s3, s2
	s_cbranch_execz .LBB5_3
; %bb.2:
	global_load_b64 v[20:21], v[0:1], off offset:2048
.LBB5_3:
	s_or_b32 exec_lo, exec_lo, s3
	v_add_nc_u32_e32 v2, 0x200, v16
                                        ; implicit-def: $vgpr25
	s_delay_alu instid0(VALU_DEP_1) | instskip(NEXT) | instid1(VALU_DEP_1)
	v_cmp_gt_i32_e64 s3, s16, v2
	s_and_saveexec_b32 s4, s3
	s_cbranch_execz .LBB5_5
; %bb.4:
	v_add_co_u32 v2, vcc_lo, 0x1000, v0
	v_add_co_ci_u32_e32 v3, vcc_lo, 0, v1, vcc_lo
	global_load_b64 v[24:25], v[2:3], off
.LBB5_5:
	s_or_b32 exec_lo, exec_lo, s4
	v_add_nc_u32_e32 v2, 0x300, v16
                                        ; implicit-def: $vgpr27
	s_delay_alu instid0(VALU_DEP_1) | instskip(NEXT) | instid1(VALU_DEP_1)
	v_cmp_gt_i32_e64 s4, s16, v2
	s_and_saveexec_b32 s5, s4
	s_cbranch_execz .LBB5_7
; %bb.6:
	v_add_co_u32 v2, vcc_lo, 0x1000, v0
	v_add_co_ci_u32_e32 v3, vcc_lo, 0, v1, vcc_lo
	global_load_b64 v[26:27], v[2:3], off offset:2048
.LBB5_7:
	s_or_b32 exec_lo, exec_lo, s5
	v_or_b32_e32 v22, 0x400, v16
                                        ; implicit-def: $vgpr31
	s_delay_alu instid0(VALU_DEP_1) | instskip(SKIP_1) | instid1(VALU_DEP_2)
	v_cmp_gt_i32_e64 s5, s16, v22
	v_ashrrev_i32_e32 v23, 31, v22
	s_and_saveexec_b32 s6, s5
	s_cbranch_execz .LBB5_9
; %bb.8:
	s_delay_alu instid0(VALU_DEP_1) | instskip(NEXT) | instid1(VALU_DEP_1)
	v_lshlrev_b64 v[2:3], 3, v[22:23]
	v_add_co_u32 v2, vcc_lo, s14, v2
	s_delay_alu instid0(VALU_DEP_2)
	v_add_co_ci_u32_e32 v3, vcc_lo, s15, v3, vcc_lo
	global_load_b64 v[30:31], v[2:3], off
.LBB5_9:
	s_or_b32 exec_lo, exec_lo, s6
	v_add_nc_u32_e32 v2, 0x500, v16
                                        ; implicit-def: $vgpr33
	s_delay_alu instid0(VALU_DEP_1) | instskip(NEXT) | instid1(VALU_DEP_1)
	v_cmp_gt_i32_e64 s6, s16, v2
	s_and_saveexec_b32 s7, s6
	s_cbranch_execz .LBB5_11
; %bb.10:
	v_add_co_u32 v2, vcc_lo, 0x2000, v0
	v_add_co_ci_u32_e32 v3, vcc_lo, 0, v1, vcc_lo
	global_load_b64 v[32:33], v[2:3], off offset:2048
.LBB5_11:
	s_or_b32 exec_lo, exec_lo, s7
	v_add_nc_u32_e32 v2, 0x600, v16
                                        ; implicit-def: $vgpr37
	s_delay_alu instid0(VALU_DEP_1) | instskip(NEXT) | instid1(VALU_DEP_1)
	v_cmp_gt_i32_e64 s7, s16, v2
	s_and_saveexec_b32 s8, s7
	s_cbranch_execz .LBB5_13
; %bb.12:
	v_add_co_u32 v2, vcc_lo, 0x3000, v0
	v_add_co_ci_u32_e32 v3, vcc_lo, 0, v1, vcc_lo
	global_load_b64 v[36:37], v[2:3], off
.LBB5_13:
	s_or_b32 exec_lo, exec_lo, s8
	v_add_nc_u32_e32 v2, 0x700, v16
                                        ; implicit-def: $vgpr39
	s_delay_alu instid0(VALU_DEP_1) | instskip(NEXT) | instid1(VALU_DEP_1)
	v_cmp_gt_i32_e64 s8, s16, v2
	s_and_saveexec_b32 s9, s8
	s_cbranch_execz .LBB5_15
; %bb.14:
	v_add_co_u32 v2, vcc_lo, 0x3000, v0
	v_add_co_ci_u32_e32 v3, vcc_lo, 0, v1, vcc_lo
	global_load_b64 v[38:39], v[2:3], off offset:2048
.LBB5_15:
	s_or_b32 exec_lo, exec_lo, s9
	v_or_b32_e32 v28, 0x800, v16
                                        ; implicit-def: $vgpr41
	s_delay_alu instid0(VALU_DEP_1) | instskip(SKIP_1) | instid1(VALU_DEP_2)
	v_cmp_gt_i32_e64 s9, s16, v28
	v_ashrrev_i32_e32 v29, 31, v28
	s_and_saveexec_b32 s10, s9
	s_cbranch_execz .LBB5_17
; %bb.16:
	s_delay_alu instid0(VALU_DEP_1) | instskip(NEXT) | instid1(VALU_DEP_1)
	v_lshlrev_b64 v[2:3], 3, v[28:29]
	v_add_co_u32 v2, vcc_lo, s14, v2
	s_delay_alu instid0(VALU_DEP_2)
	v_add_co_ci_u32_e32 v3, vcc_lo, s15, v3, vcc_lo
	global_load_b64 v[40:41], v[2:3], off
.LBB5_17:
	s_or_b32 exec_lo, exec_lo, s10
	v_add_nc_u32_e32 v2, 0x900, v16
                                        ; implicit-def: $vgpr43
	s_delay_alu instid0(VALU_DEP_1) | instskip(NEXT) | instid1(VALU_DEP_1)
	v_cmp_gt_i32_e64 s10, s16, v2
	s_and_saveexec_b32 s11, s10
	s_cbranch_execz .LBB5_19
; %bb.18:
	v_add_co_u32 v2, vcc_lo, 0x4000, v0
	v_add_co_ci_u32_e32 v3, vcc_lo, 0, v1, vcc_lo
	global_load_b64 v[42:43], v[2:3], off offset:2048
.LBB5_19:
	s_or_b32 exec_lo, exec_lo, s11
	v_add_nc_u32_e32 v2, 0xa00, v16
                                        ; implicit-def: $vgpr45
	s_delay_alu instid0(VALU_DEP_1) | instskip(NEXT) | instid1(VALU_DEP_1)
	v_cmp_gt_i32_e64 s11, s16, v2
	s_and_saveexec_b32 s12, s11
	s_cbranch_execz .LBB5_21
; %bb.20:
	v_add_co_u32 v2, vcc_lo, 0x5000, v0
	v_add_co_ci_u32_e32 v3, vcc_lo, 0, v1, vcc_lo
	global_load_b64 v[44:45], v[2:3], off
.LBB5_21:
	s_or_b32 exec_lo, exec_lo, s12
	v_add_nc_u32_e32 v2, 0xb00, v16
                                        ; implicit-def: $vgpr47
	s_delay_alu instid0(VALU_DEP_1) | instskip(NEXT) | instid1(VALU_DEP_1)
	v_cmp_gt_i32_e64 s12, s16, v2
	s_and_saveexec_b32 s13, s12
	s_cbranch_execz .LBB5_23
; %bb.22:
	v_add_co_u32 v2, vcc_lo, 0x5000, v0
	v_add_co_ci_u32_e32 v3, vcc_lo, 0, v1, vcc_lo
	global_load_b64 v[46:47], v[2:3], off offset:2048
.LBB5_23:
	s_or_b32 exec_lo, exec_lo, s13
	v_or_b32_e32 v34, 0xc00, v16
                                        ; implicit-def: $vgpr49
	s_delay_alu instid0(VALU_DEP_1) | instskip(SKIP_1) | instid1(VALU_DEP_2)
	v_cmp_gt_i32_e64 s13, s16, v34
	v_ashrrev_i32_e32 v35, 31, v34
	s_and_saveexec_b32 s17, s13
	s_cbranch_execz .LBB5_25
; %bb.24:
	s_delay_alu instid0(VALU_DEP_1) | instskip(NEXT) | instid1(VALU_DEP_1)
	v_lshlrev_b64 v[2:3], 3, v[34:35]
	v_add_co_u32 v2, vcc_lo, s14, v2
	s_delay_alu instid0(VALU_DEP_2)
	v_add_co_ci_u32_e32 v3, vcc_lo, s15, v3, vcc_lo
	global_load_b64 v[48:49], v[2:3], off
.LBB5_25:
	s_or_b32 exec_lo, exec_lo, s17
	v_add_nc_u32_e32 v2, 0xd00, v16
                                        ; implicit-def: $vgpr51
	s_delay_alu instid0(VALU_DEP_1) | instskip(NEXT) | instid1(VALU_DEP_1)
	v_cmp_gt_i32_e64 s14, s16, v2
	s_and_saveexec_b32 s15, s14
	s_cbranch_execz .LBB5_27
; %bb.26:
	v_add_co_u32 v2, vcc_lo, 0x6000, v0
	v_add_co_ci_u32_e32 v3, vcc_lo, 0, v1, vcc_lo
	global_load_b64 v[50:51], v[2:3], off offset:2048
.LBB5_27:
	s_or_b32 exec_lo, exec_lo, s15
	s_load_b64 s[36:37], s[0:1], 0x10
	v_add_nc_u32_e32 v2, 0xe00, v16
                                        ; implicit-def: $vgpr53
	s_delay_alu instid0(VALU_DEP_1) | instskip(NEXT) | instid1(VALU_DEP_1)
	v_cmp_gt_i32_e64 s15, s16, v2
	s_and_saveexec_b32 s17, s15
	s_cbranch_execz .LBB5_29
; %bb.28:
	v_add_co_u32 v2, vcc_lo, 0x7000, v0
	v_add_co_ci_u32_e32 v3, vcc_lo, 0, v1, vcc_lo
	global_load_b64 v[52:53], v[2:3], off
.LBB5_29:
	s_or_b32 exec_lo, exec_lo, s17
	s_load_b64 s[34:35], s[0:1], 0x0
	v_add_nc_u32_e32 v2, 0xf00, v16
                                        ; implicit-def: $vgpr55
	s_delay_alu instid0(VALU_DEP_1) | instskip(NEXT) | instid1(VALU_DEP_1)
	v_cmp_gt_i32_e64 s0, s16, v2
	s_and_saveexec_b32 s1, s0
	s_cbranch_execz .LBB5_31
; %bb.30:
	v_add_co_u32 v0, vcc_lo, 0x7000, v0
	v_add_co_ci_u32_e32 v1, vcc_lo, 0, v1, vcc_lo
	global_load_b64 v[54:55], v[0:1], off offset:2048
.LBB5_31:
	s_or_b32 exec_lo, exec_lo, s1
	s_waitcnt lgkmcnt(0)
	s_load_b64 s[38:39], s[36:37], 0x12b8
	s_mov_b32 s16, 0
	s_delay_alu instid0(SALU_CYCLE_1)
	s_mov_b32 s17, s16
	s_mov_b32 s18, s16
	;; [unrolled: 1-line block ×15, first 2 shown]
	v_dual_mov_b32 v0, s16 :: v_dual_mov_b32 v1, s17
	v_dual_mov_b32 v2, s18 :: v_dual_mov_b32 v3, s19
	;; [unrolled: 1-line block ×8, first 2 shown]
	s_mov_b64 s[16:17], 0
	s_waitcnt lgkmcnt(0)
	s_mov_b32 s18, s38
.LBB5_32:                               ; =>This Inner Loop Header: Depth=1
	s_add_u32 s20, s36, s16
	s_addc_u32 s21, s37, s17
	s_mov_b32 s1, s18
	s_load_b64 s[18:19], s[20:21], 0x0
	s_waitcnt lgkmcnt(0)
	v_sub_f32_e64 v56, s1, s18
	v_sub_f32_e64 v57, s39, s19
	s_waitcnt vmcnt(0)
	v_cmp_ngt_f32_e64 s1, s39, v19
	s_delay_alu instid0(VALU_DEP_2) | instskip(SKIP_1) | instid1(VALU_DEP_2)
	v_div_scale_f32 v58, null, v57, v57, v56
	v_div_scale_f32 v61, vcc_lo, v56, v57, v56
	v_rcp_f32_e32 v59, v58
	s_waitcnt_depctr 0xfff
	v_fma_f32 v60, -v58, v59, 1.0
	s_delay_alu instid0(VALU_DEP_1) | instskip(NEXT) | instid1(VALU_DEP_1)
	v_fmac_f32_e32 v59, v60, v59
	v_mul_f32_e32 v60, v61, v59
	s_delay_alu instid0(VALU_DEP_1) | instskip(NEXT) | instid1(VALU_DEP_1)
	v_fma_f32 v62, -v58, v60, v61
	v_fmac_f32_e32 v60, v62, v59
	s_delay_alu instid0(VALU_DEP_1) | instskip(NEXT) | instid1(VALU_DEP_1)
	v_fma_f32 v58, -v58, v60, v61
	v_div_fmas_f32 v58, v58, v59, v60
	v_cmp_gt_f32_e32 vcc_lo, s19, v19
	s_delay_alu instid0(VALU_DEP_2) | instskip(SKIP_1) | instid1(SALU_CYCLE_1)
	v_div_fixup_f32 v56, v58, v57, v56
	s_xor_b32 s1, vcc_lo, s1
	s_xor_b32 s20, s1, -1
	s_delay_alu instid0(SALU_CYCLE_1)
	s_and_saveexec_b32 s1, s20
	s_cbranch_execz .LBB5_36
; %bb.33:                               ;   in Loop: Header=BB5_32 Depth=1
	v_subrev_f32_e32 v57, s19, v19
	s_mov_b32 s20, exec_lo
	s_delay_alu instid0(VALU_DEP_1) | instskip(NEXT) | instid1(VALU_DEP_1)
	v_fma_f32 v57, v56, v57, s18
	v_cmpx_lt_f32_e32 v18, v57
; %bb.34:                               ;   in Loop: Header=BB5_32 Depth=1
	v_cmp_eq_u32_e32 vcc_lo, 0, v0
	v_cndmask_b32_e64 v0, 0, 1, vcc_lo
; %bb.35:                               ;   in Loop: Header=BB5_32 Depth=1
	s_or_b32 exec_lo, exec_lo, s20
.LBB5_36:                               ;   in Loop: Header=BB5_32 Depth=1
	s_delay_alu instid0(SALU_CYCLE_1) | instskip(SKIP_2) | instid1(VALU_DEP_1)
	s_or_b32 exec_lo, exec_lo, s1
	v_cmp_gt_f32_e32 vcc_lo, s19, v21
	v_cmp_ngt_f32_e64 s1, s39, v21
	s_xor_b32 s1, vcc_lo, s1
	s_delay_alu instid0(SALU_CYCLE_1) | instskip(NEXT) | instid1(SALU_CYCLE_1)
	s_xor_b32 s20, s1, -1
	s_and_saveexec_b32 s1, s20
	s_cbranch_execz .LBB5_40
; %bb.37:                               ;   in Loop: Header=BB5_32 Depth=1
	v_subrev_f32_e32 v57, s19, v21
	s_mov_b32 s20, exec_lo
	s_delay_alu instid0(VALU_DEP_1) | instskip(NEXT) | instid1(VALU_DEP_1)
	v_fma_f32 v57, v56, v57, s18
	v_cmpx_lt_f32_e32 v20, v57
; %bb.38:                               ;   in Loop: Header=BB5_32 Depth=1
	v_cmp_eq_u32_e32 vcc_lo, 0, v1
	v_cndmask_b32_e64 v1, 0, 1, vcc_lo
; %bb.39:                               ;   in Loop: Header=BB5_32 Depth=1
	s_or_b32 exec_lo, exec_lo, s20
.LBB5_40:                               ;   in Loop: Header=BB5_32 Depth=1
	s_delay_alu instid0(SALU_CYCLE_1) | instskip(SKIP_2) | instid1(VALU_DEP_1)
	s_or_b32 exec_lo, exec_lo, s1
	v_cmp_gt_f32_e32 vcc_lo, s19, v25
	v_cmp_ngt_f32_e64 s1, s39, v25
	s_xor_b32 s1, vcc_lo, s1
	s_delay_alu instid0(SALU_CYCLE_1) | instskip(NEXT) | instid1(SALU_CYCLE_1)
	s_xor_b32 s20, s1, -1
	;; [unrolled: 21-line block ×15, first 2 shown]
	s_and_saveexec_b32 s1, s20
	s_cbranch_execz .LBB5_96
; %bb.93:                               ;   in Loop: Header=BB5_32 Depth=1
	v_subrev_f32_e32 v57, s19, v55
	s_mov_b32 s20, exec_lo
	s_delay_alu instid0(VALU_DEP_1) | instskip(NEXT) | instid1(VALU_DEP_1)
	v_fma_f32 v56, v56, v57, s18
	v_cmpx_lt_f32_e32 v54, v56
; %bb.94:                               ;   in Loop: Header=BB5_32 Depth=1
	v_cmp_eq_u32_e32 vcc_lo, 0, v15
	v_cndmask_b32_e64 v15, 0, 1, vcc_lo
; %bb.95:                               ;   in Loop: Header=BB5_32 Depth=1
	s_or_b32 exec_lo, exec_lo, s20
.LBB5_96:                               ;   in Loop: Header=BB5_32 Depth=1
	s_delay_alu instid0(SALU_CYCLE_1)
	s_or_b32 exec_lo, exec_lo, s1
	s_add_u32 s16, s16, 8
	s_addc_u32 s17, s17, 0
	s_cmpk_lg_i32 s16, 0x12c0
	s_cbranch_scc0 .LBB5_98
; %bb.97:                               ;   in Loop: Header=BB5_32 Depth=1
	s_mov_b32 s39, s19
	s_branch .LBB5_32
.LBB5_98:
	v_lshlrev_b64 v[16:17], 2, v[16:17]
	s_delay_alu instid0(VALU_DEP_1) | instskip(NEXT) | instid1(VALU_DEP_2)
	v_add_co_u32 v16, vcc_lo, s34, v16
	v_add_co_ci_u32_e32 v17, vcc_lo, s35, v17, vcc_lo
	global_store_b32 v[16:17], v0, off
	s_and_saveexec_b32 s1, s2
	s_cbranch_execnz .LBB5_115
; %bb.99:
	s_or_b32 exec_lo, exec_lo, s1
	s_and_saveexec_b32 s1, s3
	s_cbranch_execnz .LBB5_116
.LBB5_100:
	s_or_b32 exec_lo, exec_lo, s1
	s_and_saveexec_b32 s1, s4
	s_cbranch_execnz .LBB5_117
.LBB5_101:
	s_or_b32 exec_lo, exec_lo, s1
	s_and_saveexec_b32 s1, s5
	s_cbranch_execnz .LBB5_118
.LBB5_102:
	s_or_b32 exec_lo, exec_lo, s1
	s_and_saveexec_b32 s1, s6
	s_cbranch_execnz .LBB5_119
.LBB5_103:
	s_or_b32 exec_lo, exec_lo, s1
	s_and_saveexec_b32 s1, s7
	s_cbranch_execnz .LBB5_120
.LBB5_104:
	s_or_b32 exec_lo, exec_lo, s1
	s_and_saveexec_b32 s1, s8
	s_cbranch_execnz .LBB5_121
.LBB5_105:
	s_or_b32 exec_lo, exec_lo, s1
	s_and_saveexec_b32 s1, s9
	s_cbranch_execnz .LBB5_122
.LBB5_106:
	s_or_b32 exec_lo, exec_lo, s1
	s_and_saveexec_b32 s1, s10
	s_cbranch_execnz .LBB5_123
.LBB5_107:
	s_or_b32 exec_lo, exec_lo, s1
	s_and_saveexec_b32 s1, s11
	s_cbranch_execnz .LBB5_124
.LBB5_108:
	s_or_b32 exec_lo, exec_lo, s1
	s_and_saveexec_b32 s1, s12
	s_cbranch_execnz .LBB5_125
.LBB5_109:
	s_or_b32 exec_lo, exec_lo, s1
	s_and_saveexec_b32 s1, s13
	s_cbranch_execnz .LBB5_126
.LBB5_110:
	s_or_b32 exec_lo, exec_lo, s1
	s_and_saveexec_b32 s1, s14
	s_cbranch_execnz .LBB5_127
.LBB5_111:
	s_or_b32 exec_lo, exec_lo, s1
	s_and_saveexec_b32 s1, s15
	s_cbranch_execnz .LBB5_128
.LBB5_112:
	s_or_b32 exec_lo, exec_lo, s1
	s_delay_alu instid0(SALU_CYCLE_1)
	s_and_b32 exec_lo, exec_lo, s0
	s_cbranch_execz .LBB5_114
.LBB5_113:
	v_add_co_u32 v0, vcc_lo, 0x3000, v16
	v_add_co_ci_u32_e32 v1, vcc_lo, 0, v17, vcc_lo
	global_store_b32 v[0:1], v15, off offset:3072
.LBB5_114:
	s_nop 0
	s_sendmsg sendmsg(MSG_DEALLOC_VGPRS)
	s_endpgm
.LBB5_115:
	global_store_b32 v[16:17], v1, off offset:1024
	s_or_b32 exec_lo, exec_lo, s1
	s_and_saveexec_b32 s1, s3
	s_cbranch_execz .LBB5_100
.LBB5_116:
	global_store_b32 v[16:17], v2, off offset:2048
	s_or_b32 exec_lo, exec_lo, s1
	s_and_saveexec_b32 s1, s4
	s_cbranch_execz .LBB5_101
.LBB5_117:
	global_store_b32 v[16:17], v3, off offset:3072
	s_or_b32 exec_lo, exec_lo, s1
	s_and_saveexec_b32 s1, s5
	s_cbranch_execz .LBB5_102
.LBB5_118:
	v_lshlrev_b64 v[0:1], 2, v[22:23]
	s_delay_alu instid0(VALU_DEP_1) | instskip(NEXT) | instid1(VALU_DEP_2)
	v_add_co_u32 v0, vcc_lo, s34, v0
	v_add_co_ci_u32_e32 v1, vcc_lo, s35, v1, vcc_lo
	global_store_b32 v[0:1], v4, off
	s_or_b32 exec_lo, exec_lo, s1
	s_and_saveexec_b32 s1, s6
	s_cbranch_execz .LBB5_103
.LBB5_119:
	v_add_co_u32 v0, vcc_lo, 0x1000, v16
	v_add_co_ci_u32_e32 v1, vcc_lo, 0, v17, vcc_lo
	global_store_b32 v[0:1], v5, off offset:1024
	s_or_b32 exec_lo, exec_lo, s1
	s_and_saveexec_b32 s1, s7
	s_cbranch_execz .LBB5_104
.LBB5_120:
	v_add_co_u32 v0, vcc_lo, 0x1000, v16
	v_add_co_ci_u32_e32 v1, vcc_lo, 0, v17, vcc_lo
	global_store_b32 v[0:1], v6, off offset:2048
	s_or_b32 exec_lo, exec_lo, s1
	s_and_saveexec_b32 s1, s8
	s_cbranch_execz .LBB5_105
.LBB5_121:
	v_add_co_u32 v0, vcc_lo, 0x1000, v16
	v_add_co_ci_u32_e32 v1, vcc_lo, 0, v17, vcc_lo
	global_store_b32 v[0:1], v7, off offset:3072
	s_or_b32 exec_lo, exec_lo, s1
	s_and_saveexec_b32 s1, s9
	s_cbranch_execz .LBB5_106
.LBB5_122:
	v_lshlrev_b64 v[0:1], 2, v[28:29]
	s_delay_alu instid0(VALU_DEP_1) | instskip(NEXT) | instid1(VALU_DEP_2)
	v_add_co_u32 v0, vcc_lo, s34, v0
	v_add_co_ci_u32_e32 v1, vcc_lo, s35, v1, vcc_lo
	global_store_b32 v[0:1], v8, off
	s_or_b32 exec_lo, exec_lo, s1
	s_and_saveexec_b32 s1, s10
	s_cbranch_execz .LBB5_107
.LBB5_123:
	v_add_co_u32 v0, vcc_lo, 0x2000, v16
	v_add_co_ci_u32_e32 v1, vcc_lo, 0, v17, vcc_lo
	global_store_b32 v[0:1], v9, off offset:1024
	s_or_b32 exec_lo, exec_lo, s1
	s_and_saveexec_b32 s1, s11
	s_cbranch_execz .LBB5_108
.LBB5_124:
	v_add_co_u32 v0, vcc_lo, 0x2000, v16
	v_add_co_ci_u32_e32 v1, vcc_lo, 0, v17, vcc_lo
	global_store_b32 v[0:1], v10, off offset:2048
	s_or_b32 exec_lo, exec_lo, s1
	s_and_saveexec_b32 s1, s12
	s_cbranch_execz .LBB5_109
.LBB5_125:
	v_add_co_u32 v0, vcc_lo, 0x2000, v16
	v_add_co_ci_u32_e32 v1, vcc_lo, 0, v17, vcc_lo
	global_store_b32 v[0:1], v11, off offset:3072
	s_or_b32 exec_lo, exec_lo, s1
	s_and_saveexec_b32 s1, s13
	s_cbranch_execz .LBB5_110
.LBB5_126:
	v_lshlrev_b64 v[0:1], 2, v[34:35]
	s_delay_alu instid0(VALU_DEP_1) | instskip(NEXT) | instid1(VALU_DEP_2)
	v_add_co_u32 v0, vcc_lo, s34, v0
	v_add_co_ci_u32_e32 v1, vcc_lo, s35, v1, vcc_lo
	global_store_b32 v[0:1], v12, off
	s_or_b32 exec_lo, exec_lo, s1
	s_and_saveexec_b32 s1, s14
	s_cbranch_execz .LBB5_111
.LBB5_127:
	v_add_co_u32 v0, vcc_lo, 0x3000, v16
	v_add_co_ci_u32_e32 v1, vcc_lo, 0, v17, vcc_lo
	global_store_b32 v[0:1], v13, off offset:1024
	s_or_b32 exec_lo, exec_lo, s1
	s_and_saveexec_b32 s1, s15
	s_cbranch_execz .LBB5_112
.LBB5_128:
	v_add_co_u32 v0, vcc_lo, 0x3000, v16
	v_add_co_ci_u32_e32 v1, vcc_lo, 0, v17, vcc_lo
	global_store_b32 v[0:1], v14, off offset:2048
	s_or_b32 exec_lo, exec_lo, s1
	s_delay_alu instid0(SALU_CYCLE_1)
	s_and_b32 exec_lo, exec_lo, s0
	s_cbranch_execnz .LBB5_113
	s_branch .LBB5_114
	.section	.rodata,"a",@progbits
	.p2align	6, 0x0
	.amdhsa_kernel _Z10pnpoly_optILi16EEvPiPK15HIP_vector_typeIfLj2EES4_i
		.amdhsa_group_segment_fixed_size 0
		.amdhsa_private_segment_fixed_size 0
		.amdhsa_kernarg_size 28
		.amdhsa_user_sgpr_count 15
		.amdhsa_user_sgpr_dispatch_ptr 0
		.amdhsa_user_sgpr_queue_ptr 0
		.amdhsa_user_sgpr_kernarg_segment_ptr 1
		.amdhsa_user_sgpr_dispatch_id 0
		.amdhsa_user_sgpr_private_segment_size 0
		.amdhsa_wavefront_size32 1
		.amdhsa_uses_dynamic_stack 0
		.amdhsa_enable_private_segment 0
		.amdhsa_system_sgpr_workgroup_id_x 1
		.amdhsa_system_sgpr_workgroup_id_y 0
		.amdhsa_system_sgpr_workgroup_id_z 0
		.amdhsa_system_sgpr_workgroup_info 0
		.amdhsa_system_vgpr_workitem_id 0
		.amdhsa_next_free_vgpr 63
		.amdhsa_next_free_sgpr 40
		.amdhsa_reserve_vcc 1
		.amdhsa_float_round_mode_32 0
		.amdhsa_float_round_mode_16_64 0
		.amdhsa_float_denorm_mode_32 3
		.amdhsa_float_denorm_mode_16_64 3
		.amdhsa_dx10_clamp 1
		.amdhsa_ieee_mode 1
		.amdhsa_fp16_overflow 0
		.amdhsa_workgroup_processor_mode 1
		.amdhsa_memory_ordered 1
		.amdhsa_forward_progress 0
		.amdhsa_shared_vgpr_count 0
		.amdhsa_exception_fp_ieee_invalid_op 0
		.amdhsa_exception_fp_denorm_src 0
		.amdhsa_exception_fp_ieee_div_zero 0
		.amdhsa_exception_fp_ieee_overflow 0
		.amdhsa_exception_fp_ieee_underflow 0
		.amdhsa_exception_fp_ieee_inexact 0
		.amdhsa_exception_int_div_zero 0
	.end_amdhsa_kernel
	.section	.text._Z10pnpoly_optILi16EEvPiPK15HIP_vector_typeIfLj2EES4_i,"axG",@progbits,_Z10pnpoly_optILi16EEvPiPK15HIP_vector_typeIfLj2EES4_i,comdat
.Lfunc_end5:
	.size	_Z10pnpoly_optILi16EEvPiPK15HIP_vector_typeIfLj2EES4_i, .Lfunc_end5-_Z10pnpoly_optILi16EEvPiPK15HIP_vector_typeIfLj2EES4_i
                                        ; -- End function
	.section	.AMDGPU.csdata,"",@progbits
; Kernel info:
; codeLenInByte = 3312
; NumSgprs: 42
; NumVgprs: 63
; ScratchSize: 0
; MemoryBound: 0
; FloatMode: 240
; IeeeMode: 1
; LDSByteSize: 0 bytes/workgroup (compile time only)
; SGPRBlocks: 5
; VGPRBlocks: 7
; NumSGPRsForWavesPerEU: 42
; NumVGPRsForWavesPerEU: 63
; Occupancy: 16
; WaveLimiterHint : 0
; COMPUTE_PGM_RSRC2:SCRATCH_EN: 0
; COMPUTE_PGM_RSRC2:USER_SGPR: 15
; COMPUTE_PGM_RSRC2:TRAP_HANDLER: 0
; COMPUTE_PGM_RSRC2:TGID_X_EN: 1
; COMPUTE_PGM_RSRC2:TGID_Y_EN: 0
; COMPUTE_PGM_RSRC2:TGID_Z_EN: 0
; COMPUTE_PGM_RSRC2:TIDIG_COMP_CNT: 0
	.section	.text._Z10pnpoly_optILi32EEvPiPK15HIP_vector_typeIfLj2EES4_i,"axG",@progbits,_Z10pnpoly_optILi32EEvPiPK15HIP_vector_typeIfLj2EES4_i,comdat
	.protected	_Z10pnpoly_optILi32EEvPiPK15HIP_vector_typeIfLj2EES4_i ; -- Begin function _Z10pnpoly_optILi32EEvPiPK15HIP_vector_typeIfLj2EES4_i
	.globl	_Z10pnpoly_optILi32EEvPiPK15HIP_vector_typeIfLj2EES4_i
	.p2align	8
	.type	_Z10pnpoly_optILi32EEvPiPK15HIP_vector_typeIfLj2EES4_i,@function
_Z10pnpoly_optILi32EEvPiPK15HIP_vector_typeIfLj2EES4_i: ; @_Z10pnpoly_optILi32EEvPiPK15HIP_vector_typeIfLj2EES4_i
; %bb.0:
	s_load_b32 s33, s[0:1], 0x18
	v_lshl_or_b32 v0, s15, 13, v0
	s_mov_b32 s2, exec_lo
	s_waitcnt lgkmcnt(0)
	s_delay_alu instid0(VALU_DEP_1)
	v_cmpx_gt_i32_e64 s33, v0
	s_cbranch_execz .LBB6_226
; %bb.1:
	s_load_b64 s[30:31], s[0:1], 0x8
	v_ashrrev_i32_e32 v1, 31, v0
	v_add_nc_u32_e32 v4, 0x100, v0
                                        ; implicit-def: $vgpr5
	s_delay_alu instid0(VALU_DEP_2) | instskip(NEXT) | instid1(VALU_DEP_2)
	v_lshlrev_b64 v[2:3], 3, v[0:1]
	v_cmp_gt_i32_e64 s2, s33, v4
	s_waitcnt lgkmcnt(0)
	s_delay_alu instid0(VALU_DEP_2) | instskip(NEXT) | instid1(VALU_DEP_3)
	v_add_co_u32 v80, vcc_lo, s30, v2
	v_add_co_ci_u32_e32 v81, vcc_lo, s31, v3, vcc_lo
	global_load_b64 v[2:3], v[80:81], off
	s_and_saveexec_b32 s3, s2
	s_cbranch_execz .LBB6_3
; %bb.2:
	global_load_b64 v[4:5], v[80:81], off offset:2048
.LBB6_3:
	s_or_b32 exec_lo, exec_lo, s3
	v_add_nc_u32_e32 v6, 0x200, v0
                                        ; implicit-def: $vgpr9
	s_delay_alu instid0(VALU_DEP_1) | instskip(NEXT) | instid1(VALU_DEP_1)
	v_cmp_gt_i32_e64 s3, s33, v6
	s_and_saveexec_b32 s4, s3
	s_cbranch_execz .LBB6_5
; %bb.4:
	v_add_co_u32 v6, vcc_lo, 0x1000, v80
	v_add_co_ci_u32_e32 v7, vcc_lo, 0, v81, vcc_lo
	global_load_b64 v[8:9], v[6:7], off
.LBB6_5:
	s_or_b32 exec_lo, exec_lo, s4
	v_add_nc_u32_e32 v6, 0x300, v0
                                        ; implicit-def: $vgpr11
	s_delay_alu instid0(VALU_DEP_1) | instskip(NEXT) | instid1(VALU_DEP_1)
	v_cmp_gt_i32_e64 s4, s33, v6
	s_and_saveexec_b32 s5, s4
	s_cbranch_execz .LBB6_7
; %bb.6:
	v_add_co_u32 v6, vcc_lo, 0x1000, v80
	v_add_co_ci_u32_e32 v7, vcc_lo, 0, v81, vcc_lo
	global_load_b64 v[10:11], v[6:7], off offset:2048
.LBB6_7:
	s_or_b32 exec_lo, exec_lo, s5
	v_or_b32_e32 v6, 0x400, v0
                                        ; implicit-def: $vgpr15
	s_delay_alu instid0(VALU_DEP_1) | instskip(SKIP_1) | instid1(VALU_DEP_2)
	v_cmp_gt_i32_e64 s5, s33, v6
	v_ashrrev_i32_e32 v7, 31, v6
	s_and_saveexec_b32 s6, s5
	s_cbranch_execz .LBB6_9
; %bb.8:
	s_delay_alu instid0(VALU_DEP_1) | instskip(NEXT) | instid1(VALU_DEP_1)
	v_lshlrev_b64 v[12:13], 3, v[6:7]
	v_add_co_u32 v12, vcc_lo, s30, v12
	s_delay_alu instid0(VALU_DEP_2)
	v_add_co_ci_u32_e32 v13, vcc_lo, s31, v13, vcc_lo
	global_load_b64 v[14:15], v[12:13], off
.LBB6_9:
	s_or_b32 exec_lo, exec_lo, s6
	v_add_nc_u32_e32 v12, 0x500, v0
                                        ; implicit-def: $vgpr17
	s_delay_alu instid0(VALU_DEP_1) | instskip(NEXT) | instid1(VALU_DEP_1)
	v_cmp_gt_i32_e64 s6, s33, v12
	s_and_saveexec_b32 s7, s6
	s_cbranch_execz .LBB6_11
; %bb.10:
	v_add_co_u32 v12, vcc_lo, 0x2000, v80
	v_add_co_ci_u32_e32 v13, vcc_lo, 0, v81, vcc_lo
	global_load_b64 v[16:17], v[12:13], off offset:2048
.LBB6_11:
	s_or_b32 exec_lo, exec_lo, s7
	v_add_nc_u32_e32 v12, 0x600, v0
                                        ; implicit-def: $vgpr21
	s_delay_alu instid0(VALU_DEP_1) | instskip(NEXT) | instid1(VALU_DEP_1)
	v_cmp_gt_i32_e64 s7, s33, v12
	s_and_saveexec_b32 s8, s7
	s_cbranch_execz .LBB6_13
; %bb.12:
	v_add_co_u32 v12, vcc_lo, 0x3000, v80
	v_add_co_ci_u32_e32 v13, vcc_lo, 0, v81, vcc_lo
	global_load_b64 v[20:21], v[12:13], off
.LBB6_13:
	s_or_b32 exec_lo, exec_lo, s8
	v_add_nc_u32_e32 v12, 0x700, v0
                                        ; implicit-def: $vgpr23
	s_delay_alu instid0(VALU_DEP_1) | instskip(NEXT) | instid1(VALU_DEP_1)
	v_cmp_gt_i32_e64 s8, s33, v12
	s_and_saveexec_b32 s9, s8
	s_cbranch_execz .LBB6_15
; %bb.14:
	v_add_co_u32 v12, vcc_lo, 0x3000, v80
	v_add_co_ci_u32_e32 v13, vcc_lo, 0, v81, vcc_lo
	global_load_b64 v[22:23], v[12:13], off offset:2048
.LBB6_15:
	s_or_b32 exec_lo, exec_lo, s9
	v_or_b32_e32 v12, 0x800, v0
                                        ; implicit-def: $vgpr27
	s_delay_alu instid0(VALU_DEP_1) | instskip(SKIP_1) | instid1(VALU_DEP_2)
	v_cmp_gt_i32_e64 s9, s33, v12
	v_ashrrev_i32_e32 v13, 31, v12
	s_and_saveexec_b32 s10, s9
	s_cbranch_execz .LBB6_17
; %bb.16:
	s_delay_alu instid0(VALU_DEP_1) | instskip(NEXT) | instid1(VALU_DEP_1)
	v_lshlrev_b64 v[18:19], 3, v[12:13]
	v_add_co_u32 v18, vcc_lo, s30, v18
	s_delay_alu instid0(VALU_DEP_2)
	v_add_co_ci_u32_e32 v19, vcc_lo, s31, v19, vcc_lo
	global_load_b64 v[26:27], v[18:19], off
.LBB6_17:
	s_or_b32 exec_lo, exec_lo, s10
	v_add_nc_u32_e32 v18, 0x900, v0
                                        ; implicit-def: $vgpr31
	s_delay_alu instid0(VALU_DEP_1) | instskip(NEXT) | instid1(VALU_DEP_1)
	v_cmp_gt_i32_e64 s10, s33, v18
	s_and_saveexec_b32 s11, s10
	s_cbranch_execz .LBB6_19
; %bb.18:
	v_add_co_u32 v18, vcc_lo, 0x4000, v80
	v_add_co_ci_u32_e32 v19, vcc_lo, 0, v81, vcc_lo
	global_load_b64 v[30:31], v[18:19], off offset:2048
.LBB6_19:
	s_or_b32 exec_lo, exec_lo, s11
	v_add_nc_u32_e32 v18, 0xa00, v0
                                        ; implicit-def: $vgpr33
	s_delay_alu instid0(VALU_DEP_1) | instskip(NEXT) | instid1(VALU_DEP_1)
	v_cmp_gt_i32_e64 s11, s33, v18
	s_and_saveexec_b32 s12, s11
	s_cbranch_execz .LBB6_21
; %bb.20:
	v_add_co_u32 v18, vcc_lo, 0x5000, v80
	v_add_co_ci_u32_e32 v19, vcc_lo, 0, v81, vcc_lo
	global_load_b64 v[32:33], v[18:19], off
.LBB6_21:
	s_or_b32 exec_lo, exec_lo, s12
	v_add_nc_u32_e32 v18, 0xb00, v0
                                        ; implicit-def: $vgpr37
	s_delay_alu instid0(VALU_DEP_1) | instskip(NEXT) | instid1(VALU_DEP_1)
	v_cmp_gt_i32_e64 s12, s33, v18
	s_and_saveexec_b32 s13, s12
	s_cbranch_execz .LBB6_23
; %bb.22:
	v_add_co_u32 v18, vcc_lo, 0x5000, v80
	v_add_co_ci_u32_e32 v19, vcc_lo, 0, v81, vcc_lo
	global_load_b64 v[36:37], v[18:19], off offset:2048
.LBB6_23:
	s_or_b32 exec_lo, exec_lo, s13
	v_or_b32_e32 v18, 0xc00, v0
                                        ; implicit-def: $vgpr39
	s_delay_alu instid0(VALU_DEP_1) | instskip(SKIP_1) | instid1(VALU_DEP_2)
	v_cmp_gt_i32_e64 s13, s33, v18
	v_ashrrev_i32_e32 v19, 31, v18
	s_and_saveexec_b32 s14, s13
	s_cbranch_execz .LBB6_25
; %bb.24:
	s_delay_alu instid0(VALU_DEP_1) | instskip(NEXT) | instid1(VALU_DEP_1)
	v_lshlrev_b64 v[24:25], 3, v[18:19]
	v_add_co_u32 v24, vcc_lo, s30, v24
	s_delay_alu instid0(VALU_DEP_2)
	v_add_co_ci_u32_e32 v25, vcc_lo, s31, v25, vcc_lo
	global_load_b64 v[38:39], v[24:25], off
.LBB6_25:
	s_or_b32 exec_lo, exec_lo, s14
	v_add_nc_u32_e32 v24, 0xd00, v0
                                        ; implicit-def: $vgpr43
	s_delay_alu instid0(VALU_DEP_1) | instskip(NEXT) | instid1(VALU_DEP_1)
	v_cmp_gt_i32_e64 s14, s33, v24
	s_and_saveexec_b32 s15, s14
	s_cbranch_execz .LBB6_27
; %bb.26:
	v_add_co_u32 v24, vcc_lo, 0x6000, v80
	v_add_co_ci_u32_e32 v25, vcc_lo, 0, v81, vcc_lo
	global_load_b64 v[42:43], v[24:25], off offset:2048
.LBB6_27:
	s_or_b32 exec_lo, exec_lo, s15
	v_add_nc_u32_e32 v24, 0xe00, v0
                                        ; implicit-def: $vgpr45
	s_delay_alu instid0(VALU_DEP_1) | instskip(NEXT) | instid1(VALU_DEP_1)
	v_cmp_gt_i32_e64 s15, s33, v24
	s_and_saveexec_b32 s16, s15
	s_cbranch_execz .LBB6_29
; %bb.28:
	v_add_co_u32 v24, vcc_lo, 0x7000, v80
	v_add_co_ci_u32_e32 v25, vcc_lo, 0, v81, vcc_lo
	global_load_b64 v[44:45], v[24:25], off
.LBB6_29:
	s_or_b32 exec_lo, exec_lo, s16
	v_add_nc_u32_e32 v24, 0xf00, v0
                                        ; implicit-def: $vgpr47
	s_delay_alu instid0(VALU_DEP_1) | instskip(NEXT) | instid1(VALU_DEP_1)
	v_cmp_gt_i32_e64 s16, s33, v24
	s_and_saveexec_b32 s17, s16
	s_cbranch_execz .LBB6_31
; %bb.30:
	v_add_co_u32 v24, vcc_lo, 0x7000, v80
	v_add_co_ci_u32_e32 v25, vcc_lo, 0, v81, vcc_lo
	global_load_b64 v[46:47], v[24:25], off offset:2048
.LBB6_31:
	s_or_b32 exec_lo, exec_lo, s17
	v_or_b32_e32 v24, 0x1000, v0
                                        ; implicit-def: $vgpr49
	s_delay_alu instid0(VALU_DEP_1) | instskip(SKIP_1) | instid1(VALU_DEP_2)
	v_cmp_gt_i32_e64 s17, s33, v24
	v_ashrrev_i32_e32 v25, 31, v24
	s_and_saveexec_b32 s18, s17
	s_cbranch_execz .LBB6_33
; %bb.32:
	s_delay_alu instid0(VALU_DEP_1) | instskip(NEXT) | instid1(VALU_DEP_1)
	v_lshlrev_b64 v[28:29], 3, v[24:25]
	v_add_co_u32 v28, vcc_lo, s30, v28
	s_delay_alu instid0(VALU_DEP_2)
	v_add_co_ci_u32_e32 v29, vcc_lo, s31, v29, vcc_lo
	global_load_b64 v[48:49], v[28:29], off
.LBB6_33:
	s_or_b32 exec_lo, exec_lo, s18
	v_add_nc_u32_e32 v28, 0x1100, v0
                                        ; implicit-def: $vgpr51
	s_delay_alu instid0(VALU_DEP_1) | instskip(NEXT) | instid1(VALU_DEP_1)
	v_cmp_gt_i32_e64 s18, s33, v28
	s_and_saveexec_b32 s19, s18
	s_cbranch_execz .LBB6_35
; %bb.34:
	v_add_co_u32 v28, vcc_lo, 0x8000, v80
	v_add_co_ci_u32_e32 v29, vcc_lo, 0, v81, vcc_lo
	global_load_b64 v[50:51], v[28:29], off offset:2048
.LBB6_35:
	s_or_b32 exec_lo, exec_lo, s19
	v_add_nc_u32_e32 v28, 0x1200, v0
                                        ; implicit-def: $vgpr53
	s_delay_alu instid0(VALU_DEP_1) | instskip(NEXT) | instid1(VALU_DEP_1)
	v_cmp_gt_i32_e64 s19, s33, v28
	s_and_saveexec_b32 s20, s19
	s_cbranch_execz .LBB6_37
; %bb.36:
	v_add_co_u32 v28, vcc_lo, 0x9000, v80
	v_add_co_ci_u32_e32 v29, vcc_lo, 0, v81, vcc_lo
	global_load_b64 v[52:53], v[28:29], off
.LBB6_37:
	s_or_b32 exec_lo, exec_lo, s20
	v_add_nc_u32_e32 v28, 0x1300, v0
                                        ; implicit-def: $vgpr55
	s_delay_alu instid0(VALU_DEP_1) | instskip(NEXT) | instid1(VALU_DEP_1)
	v_cmp_gt_i32_e64 s20, s33, v28
	s_and_saveexec_b32 s21, s20
	s_cbranch_execz .LBB6_39
; %bb.38:
	v_add_co_u32 v28, vcc_lo, 0x9000, v80
	v_add_co_ci_u32_e32 v29, vcc_lo, 0, v81, vcc_lo
	global_load_b64 v[54:55], v[28:29], off offset:2048
.LBB6_39:
	s_or_b32 exec_lo, exec_lo, s21
	v_or_b32_e32 v28, 0x1400, v0
                                        ; implicit-def: $vgpr57
	s_delay_alu instid0(VALU_DEP_1) | instskip(SKIP_1) | instid1(VALU_DEP_2)
	v_cmp_gt_i32_e64 s21, s33, v28
	v_ashrrev_i32_e32 v29, 31, v28
	s_and_saveexec_b32 s22, s21
	s_cbranch_execz .LBB6_41
; %bb.40:
	s_delay_alu instid0(VALU_DEP_1) | instskip(NEXT) | instid1(VALU_DEP_1)
	v_lshlrev_b64 v[34:35], 3, v[28:29]
	v_add_co_u32 v34, vcc_lo, s30, v34
	s_delay_alu instid0(VALU_DEP_2)
	v_add_co_ci_u32_e32 v35, vcc_lo, s31, v35, vcc_lo
	global_load_b64 v[56:57], v[34:35], off
.LBB6_41:
	s_or_b32 exec_lo, exec_lo, s22
	v_add_nc_u32_e32 v34, 0x1500, v0
                                        ; implicit-def: $vgpr59
	s_delay_alu instid0(VALU_DEP_1) | instskip(NEXT) | instid1(VALU_DEP_1)
	v_cmp_gt_i32_e64 s22, s33, v34
	s_and_saveexec_b32 s23, s22
	s_cbranch_execz .LBB6_43
; %bb.42:
	v_add_co_u32 v34, vcc_lo, 0xa000, v80
	v_add_co_ci_u32_e32 v35, vcc_lo, 0, v81, vcc_lo
	global_load_b64 v[58:59], v[34:35], off offset:2048
.LBB6_43:
	s_or_b32 exec_lo, exec_lo, s23
	v_add_nc_u32_e32 v34, 0x1600, v0
                                        ; implicit-def: $vgpr61
	s_delay_alu instid0(VALU_DEP_1) | instskip(NEXT) | instid1(VALU_DEP_1)
	v_cmp_gt_i32_e64 s23, s33, v34
	s_and_saveexec_b32 s24, s23
	s_cbranch_execz .LBB6_45
; %bb.44:
	v_add_co_u32 v34, vcc_lo, 0xb000, v80
	v_add_co_ci_u32_e32 v35, vcc_lo, 0, v81, vcc_lo
	global_load_b64 v[60:61], v[34:35], off
.LBB6_45:
	s_or_b32 exec_lo, exec_lo, s24
	v_add_nc_u32_e32 v34, 0x1700, v0
                                        ; implicit-def: $vgpr63
	s_delay_alu instid0(VALU_DEP_1) | instskip(NEXT) | instid1(VALU_DEP_1)
	v_cmp_gt_i32_e64 s24, s33, v34
	s_and_saveexec_b32 s25, s24
	s_cbranch_execz .LBB6_47
; %bb.46:
	v_add_co_u32 v34, vcc_lo, 0xb000, v80
	v_add_co_ci_u32_e32 v35, vcc_lo, 0, v81, vcc_lo
	global_load_b64 v[62:63], v[34:35], off offset:2048
.LBB6_47:
	s_or_b32 exec_lo, exec_lo, s25
	v_or_b32_e32 v34, 0x1800, v0
                                        ; implicit-def: $vgpr65
	s_delay_alu instid0(VALU_DEP_1) | instskip(SKIP_1) | instid1(VALU_DEP_2)
	v_cmp_gt_i32_e64 s25, s33, v34
	v_ashrrev_i32_e32 v35, 31, v34
	s_and_saveexec_b32 s26, s25
	s_cbranch_execz .LBB6_49
; %bb.48:
	s_delay_alu instid0(VALU_DEP_1) | instskip(NEXT) | instid1(VALU_DEP_1)
	v_lshlrev_b64 v[40:41], 3, v[34:35]
	v_add_co_u32 v40, vcc_lo, s30, v40
	s_delay_alu instid0(VALU_DEP_2)
	v_add_co_ci_u32_e32 v41, vcc_lo, s31, v41, vcc_lo
	global_load_b64 v[64:65], v[40:41], off
.LBB6_49:
	s_or_b32 exec_lo, exec_lo, s26
	v_add_nc_u32_e32 v40, 0x1900, v0
                                        ; implicit-def: $vgpr67
	s_delay_alu instid0(VALU_DEP_1) | instskip(NEXT) | instid1(VALU_DEP_1)
	v_cmp_gt_i32_e64 s26, s33, v40
	s_and_saveexec_b32 s27, s26
	s_cbranch_execz .LBB6_51
; %bb.50:
	v_add_co_u32 v40, vcc_lo, 0xc000, v80
	v_add_co_ci_u32_e32 v41, vcc_lo, 0, v81, vcc_lo
	global_load_b64 v[66:67], v[40:41], off offset:2048
.LBB6_51:
	s_or_b32 exec_lo, exec_lo, s27
	v_add_nc_u32_e32 v40, 0x1a00, v0
                                        ; implicit-def: $vgpr69
	s_delay_alu instid0(VALU_DEP_1) | instskip(NEXT) | instid1(VALU_DEP_1)
	v_cmp_gt_i32_e64 s27, s33, v40
	s_and_saveexec_b32 s28, s27
	s_cbranch_execz .LBB6_53
; %bb.52:
	v_add_co_u32 v40, vcc_lo, 0xd000, v80
	v_add_co_ci_u32_e32 v41, vcc_lo, 0, v81, vcc_lo
	global_load_b64 v[68:69], v[40:41], off
.LBB6_53:
	s_or_b32 exec_lo, exec_lo, s28
	v_add_nc_u32_e32 v40, 0x1b00, v0
                                        ; implicit-def: $vgpr71
	s_delay_alu instid0(VALU_DEP_1) | instskip(NEXT) | instid1(VALU_DEP_1)
	v_cmp_gt_i32_e64 s28, s33, v40
	s_and_saveexec_b32 s29, s28
	s_cbranch_execz .LBB6_55
; %bb.54:
	v_add_co_u32 v40, vcc_lo, 0xd000, v80
	v_add_co_ci_u32_e32 v41, vcc_lo, 0, v81, vcc_lo
	global_load_b64 v[70:71], v[40:41], off offset:2048
.LBB6_55:
	s_or_b32 exec_lo, exec_lo, s29
	v_or_b32_e32 v40, 0x1c00, v0
                                        ; implicit-def: $vgpr73
	s_delay_alu instid0(VALU_DEP_1) | instskip(SKIP_1) | instid1(VALU_DEP_2)
	v_cmp_gt_i32_e64 s29, s33, v40
	v_ashrrev_i32_e32 v41, 31, v40
	s_and_saveexec_b32 s34, s29
	s_cbranch_execz .LBB6_57
; %bb.56:
	s_delay_alu instid0(VALU_DEP_1) | instskip(NEXT) | instid1(VALU_DEP_1)
	v_lshlrev_b64 v[72:73], 3, v[40:41]
	v_add_co_u32 v72, vcc_lo, s30, v72
	s_delay_alu instid0(VALU_DEP_2)
	v_add_co_ci_u32_e32 v73, vcc_lo, s31, v73, vcc_lo
	global_load_b64 v[72:73], v[72:73], off
.LBB6_57:
	s_or_b32 exec_lo, exec_lo, s34
	v_add_nc_u32_e32 v74, 0x1d00, v0
                                        ; implicit-def: $vgpr75
	s_delay_alu instid0(VALU_DEP_1) | instskip(NEXT) | instid1(VALU_DEP_1)
	v_cmp_gt_i32_e64 s30, s33, v74
	s_and_saveexec_b32 s31, s30
	s_cbranch_execz .LBB6_59
; %bb.58:
	v_add_co_u32 v74, vcc_lo, 0xe000, v80
	v_add_co_ci_u32_e32 v75, vcc_lo, 0, v81, vcc_lo
	global_load_b64 v[74:75], v[74:75], off offset:2048
.LBB6_59:
	s_or_b32 exec_lo, exec_lo, s31
	s_load_b64 s[36:37], s[0:1], 0x10
	v_add_nc_u32_e32 v76, 0x1e00, v0
                                        ; implicit-def: $vgpr77
	s_delay_alu instid0(VALU_DEP_1) | instskip(NEXT) | instid1(VALU_DEP_1)
	v_cmp_gt_i32_e64 s31, s33, v76
	s_and_saveexec_b32 s34, s31
	s_cbranch_execz .LBB6_61
; %bb.60:
	v_add_co_u32 v76, vcc_lo, 0xf000, v80
	v_add_co_ci_u32_e32 v77, vcc_lo, 0, v81, vcc_lo
	global_load_b64 v[76:77], v[76:77], off
.LBB6_61:
	s_or_b32 exec_lo, exec_lo, s34
	s_load_b64 s[34:35], s[0:1], 0x0
	v_add_nc_u32_e32 v78, 0x1f00, v0
                                        ; implicit-def: $vgpr79
	s_delay_alu instid0(VALU_DEP_1) | instskip(NEXT) | instid1(VALU_DEP_1)
	v_cmp_gt_i32_e64 s0, s33, v78
	s_and_saveexec_b32 s1, s0
	s_cbranch_execz .LBB6_63
; %bb.62:
	v_add_co_u32 v78, vcc_lo, 0xf000, v80
	v_add_co_ci_u32_e32 v79, vcc_lo, 0, v81, vcc_lo
	global_load_b64 v[78:79], v[78:79], off offset:2048
.LBB6_63:
	s_or_b32 exec_lo, exec_lo, s1
	s_waitcnt lgkmcnt(0)
	s_load_b64 s[38:39], s[36:37], 0x12b8
	v_dual_mov_b32 v80, 0 :: v_dual_mov_b32 v81, 0
	v_dual_mov_b32 v82, 0 :: v_dual_mov_b32 v83, 0
	;; [unrolled: 1-line block ×16, first 2 shown]
	s_mov_b64 s[40:41], 0
	s_waitcnt lgkmcnt(0)
	s_mov_b32 s42, s38
.LBB6_64:                               ; =>This Inner Loop Header: Depth=1
	s_add_u32 s44, s36, s40
	s_addc_u32 s45, s37, s41
	s_mov_b32 s1, s42
	s_load_b64 s[42:43], s[44:45], 0x0
	s_waitcnt lgkmcnt(0)
	v_sub_f32_e64 v112, s1, s42
	v_sub_f32_e64 v113, s39, s43
	s_waitcnt vmcnt(0)
	v_cmp_ngt_f32_e64 s1, s39, v3
	s_delay_alu instid0(VALU_DEP_2) | instskip(SKIP_1) | instid1(VALU_DEP_2)
	v_div_scale_f32 v114, null, v113, v113, v112
	v_div_scale_f32 v117, vcc_lo, v112, v113, v112
	v_rcp_f32_e32 v115, v114
	s_waitcnt_depctr 0xfff
	v_fma_f32 v116, -v114, v115, 1.0
	s_delay_alu instid0(VALU_DEP_1) | instskip(NEXT) | instid1(VALU_DEP_1)
	v_fmac_f32_e32 v115, v116, v115
	v_mul_f32_e32 v116, v117, v115
	s_delay_alu instid0(VALU_DEP_1) | instskip(NEXT) | instid1(VALU_DEP_1)
	v_fma_f32 v118, -v114, v116, v117
	v_fmac_f32_e32 v116, v118, v115
	s_delay_alu instid0(VALU_DEP_1) | instskip(NEXT) | instid1(VALU_DEP_1)
	v_fma_f32 v114, -v114, v116, v117
	v_div_fmas_f32 v114, v114, v115, v116
	v_cmp_gt_f32_e32 vcc_lo, s43, v3
	s_delay_alu instid0(VALU_DEP_2) | instskip(SKIP_1) | instid1(SALU_CYCLE_1)
	v_div_fixup_f32 v112, v114, v113, v112
	s_xor_b32 s1, vcc_lo, s1
	s_xor_b32 s33, s1, -1
	s_delay_alu instid0(SALU_CYCLE_1)
	s_and_saveexec_b32 s1, s33
	s_cbranch_execz .LBB6_68
; %bb.65:                               ;   in Loop: Header=BB6_64 Depth=1
	v_subrev_f32_e32 v113, s43, v3
	s_mov_b32 s33, exec_lo
	s_delay_alu instid0(VALU_DEP_1) | instskip(NEXT) | instid1(VALU_DEP_1)
	v_fma_f32 v113, v112, v113, s42
	v_cmpx_lt_f32_e32 v2, v113
; %bb.66:                               ;   in Loop: Header=BB6_64 Depth=1
	v_cmp_eq_u32_e32 vcc_lo, 0, v111
	v_cndmask_b32_e64 v111, 0, 1, vcc_lo
; %bb.67:                               ;   in Loop: Header=BB6_64 Depth=1
	s_or_b32 exec_lo, exec_lo, s33
.LBB6_68:                               ;   in Loop: Header=BB6_64 Depth=1
	s_delay_alu instid0(SALU_CYCLE_1) | instskip(SKIP_2) | instid1(VALU_DEP_1)
	s_or_b32 exec_lo, exec_lo, s1
	v_cmp_gt_f32_e32 vcc_lo, s43, v5
	v_cmp_ngt_f32_e64 s1, s39, v5
	s_xor_b32 s1, vcc_lo, s1
	s_delay_alu instid0(SALU_CYCLE_1) | instskip(NEXT) | instid1(SALU_CYCLE_1)
	s_xor_b32 s33, s1, -1
	s_and_saveexec_b32 s1, s33
	s_cbranch_execz .LBB6_72
; %bb.69:                               ;   in Loop: Header=BB6_64 Depth=1
	v_subrev_f32_e32 v113, s43, v5
	s_mov_b32 s33, exec_lo
	s_delay_alu instid0(VALU_DEP_1) | instskip(NEXT) | instid1(VALU_DEP_1)
	v_fma_f32 v113, v112, v113, s42
	v_cmpx_lt_f32_e32 v4, v113
; %bb.70:                               ;   in Loop: Header=BB6_64 Depth=1
	v_cmp_eq_u32_e32 vcc_lo, 0, v110
	v_cndmask_b32_e64 v110, 0, 1, vcc_lo
; %bb.71:                               ;   in Loop: Header=BB6_64 Depth=1
	s_or_b32 exec_lo, exec_lo, s33
.LBB6_72:                               ;   in Loop: Header=BB6_64 Depth=1
	s_delay_alu instid0(SALU_CYCLE_1) | instskip(SKIP_2) | instid1(VALU_DEP_1)
	s_or_b32 exec_lo, exec_lo, s1
	v_cmp_gt_f32_e32 vcc_lo, s43, v9
	v_cmp_ngt_f32_e64 s1, s39, v9
	s_xor_b32 s1, vcc_lo, s1
	s_delay_alu instid0(SALU_CYCLE_1) | instskip(NEXT) | instid1(SALU_CYCLE_1)
	s_xor_b32 s33, s1, -1
	;; [unrolled: 21-line block ×8, first 2 shown]
	s_and_saveexec_b32 s1, s33
	s_cbranch_execz .LBB6_100
; %bb.97:                               ;   in Loop: Header=BB6_64 Depth=1
	v_subrev_f32_e32 v113, s43, v27
	s_mov_b32 s33, exec_lo
	s_delay_alu instid0(VALU_DEP_1) | instskip(NEXT) | instid1(VALU_DEP_1)
	v_fma_f32 v113, v112, v113, s42
	v_cmpx_lt_f32_e32 v26, v113
; %bb.98:                               ;   in Loop: Header=BB6_64 Depth=1
	v_cmp_eq_u32_e32 vcc_lo, 0, v103
	v_cndmask_b32_e64 v103, 0, 1, vcc_lo
; %bb.99:                               ;   in Loop: Header=BB6_64 Depth=1
	s_or_b32 exec_lo, exec_lo, s33
.LBB6_100:                              ;   in Loop: Header=BB6_64 Depth=1
	s_delay_alu instid0(SALU_CYCLE_1) | instskip(SKIP_2) | instid1(VALU_DEP_1)
	s_or_b32 exec_lo, exec_lo, s1
	v_cmp_gt_f32_e32 vcc_lo, s43, v31
	v_cmp_ngt_f32_e64 s1, s39, v31
	s_xor_b32 s1, vcc_lo, s1
	s_delay_alu instid0(SALU_CYCLE_1) | instskip(NEXT) | instid1(SALU_CYCLE_1)
	s_xor_b32 s33, s1, -1
	s_and_saveexec_b32 s1, s33
	s_cbranch_execz .LBB6_104
; %bb.101:                              ;   in Loop: Header=BB6_64 Depth=1
	v_subrev_f32_e32 v113, s43, v31
	s_mov_b32 s33, exec_lo
	s_delay_alu instid0(VALU_DEP_1) | instskip(NEXT) | instid1(VALU_DEP_1)
	v_fma_f32 v113, v112, v113, s42
	v_cmpx_lt_f32_e32 v30, v113
; %bb.102:                              ;   in Loop: Header=BB6_64 Depth=1
	v_cmp_eq_u32_e32 vcc_lo, 0, v102
	v_cndmask_b32_e64 v102, 0, 1, vcc_lo
; %bb.103:                              ;   in Loop: Header=BB6_64 Depth=1
	s_or_b32 exec_lo, exec_lo, s33
.LBB6_104:                              ;   in Loop: Header=BB6_64 Depth=1
	s_delay_alu instid0(SALU_CYCLE_1) | instskip(SKIP_2) | instid1(VALU_DEP_1)
	s_or_b32 exec_lo, exec_lo, s1
	v_cmp_gt_f32_e32 vcc_lo, s43, v33
	v_cmp_ngt_f32_e64 s1, s39, v33
	s_xor_b32 s1, vcc_lo, s1
	s_delay_alu instid0(SALU_CYCLE_1) | instskip(NEXT) | instid1(SALU_CYCLE_1)
	s_xor_b32 s33, s1, -1
	s_and_saveexec_b32 s1, s33
	s_cbranch_execz .LBB6_108
; %bb.105:                              ;   in Loop: Header=BB6_64 Depth=1
	v_subrev_f32_e32 v113, s43, v33
	s_mov_b32 s33, exec_lo
	s_delay_alu instid0(VALU_DEP_1) | instskip(NEXT) | instid1(VALU_DEP_1)
	v_fma_f32 v113, v112, v113, s42
	v_cmpx_lt_f32_e32 v32, v113
; %bb.106:                              ;   in Loop: Header=BB6_64 Depth=1
	v_cmp_eq_u32_e32 vcc_lo, 0, v101
	v_cndmask_b32_e64 v101, 0, 1, vcc_lo
; %bb.107:                              ;   in Loop: Header=BB6_64 Depth=1
	s_or_b32 exec_lo, exec_lo, s33
.LBB6_108:                              ;   in Loop: Header=BB6_64 Depth=1
	;; [unrolled: 21-line block ×23, first 2 shown]
	s_delay_alu instid0(SALU_CYCLE_1)
	s_or_b32 exec_lo, exec_lo, s1
	s_add_u32 s40, s40, 8
	s_addc_u32 s41, s41, 0
	s_cmpk_lg_i32 s40, 0x12c0
	s_cbranch_scc0 .LBB6_194
; %bb.193:                              ;   in Loop: Header=BB6_64 Depth=1
	s_mov_b32 s39, s43
	s_branch .LBB6_64
.LBB6_194:
	v_lshlrev_b64 v[0:1], 2, v[0:1]
	s_delay_alu instid0(VALU_DEP_1) | instskip(NEXT) | instid1(VALU_DEP_2)
	v_add_co_u32 v0, vcc_lo, s34, v0
	v_add_co_ci_u32_e32 v1, vcc_lo, s35, v1, vcc_lo
	global_store_b32 v[0:1], v111, off
	s_and_saveexec_b32 s1, s2
	s_cbranch_execnz .LBB6_227
; %bb.195:
	s_or_b32 exec_lo, exec_lo, s1
	s_and_saveexec_b32 s1, s3
	s_cbranch_execnz .LBB6_228
.LBB6_196:
	s_or_b32 exec_lo, exec_lo, s1
	s_and_saveexec_b32 s1, s4
	s_cbranch_execnz .LBB6_229
.LBB6_197:
	s_or_b32 exec_lo, exec_lo, s1
	s_and_saveexec_b32 s1, s5
	s_cbranch_execnz .LBB6_230
.LBB6_198:
	s_or_b32 exec_lo, exec_lo, s1
	s_and_saveexec_b32 s1, s6
	s_cbranch_execnz .LBB6_231
.LBB6_199:
	s_or_b32 exec_lo, exec_lo, s1
	s_and_saveexec_b32 s1, s7
	s_cbranch_execnz .LBB6_232
.LBB6_200:
	s_or_b32 exec_lo, exec_lo, s1
	s_and_saveexec_b32 s1, s8
	s_cbranch_execnz .LBB6_233
.LBB6_201:
	s_or_b32 exec_lo, exec_lo, s1
	s_and_saveexec_b32 s1, s9
	s_cbranch_execnz .LBB6_234
.LBB6_202:
	s_or_b32 exec_lo, exec_lo, s1
	s_and_saveexec_b32 s1, s10
	s_cbranch_execnz .LBB6_235
.LBB6_203:
	s_or_b32 exec_lo, exec_lo, s1
	s_and_saveexec_b32 s1, s11
	s_cbranch_execnz .LBB6_236
.LBB6_204:
	s_or_b32 exec_lo, exec_lo, s1
	s_and_saveexec_b32 s1, s12
	s_cbranch_execnz .LBB6_237
.LBB6_205:
	s_or_b32 exec_lo, exec_lo, s1
	s_and_saveexec_b32 s1, s13
	s_cbranch_execnz .LBB6_238
.LBB6_206:
	s_or_b32 exec_lo, exec_lo, s1
	s_and_saveexec_b32 s1, s14
	s_cbranch_execnz .LBB6_239
.LBB6_207:
	s_or_b32 exec_lo, exec_lo, s1
	s_and_saveexec_b32 s1, s15
	s_cbranch_execnz .LBB6_240
.LBB6_208:
	s_or_b32 exec_lo, exec_lo, s1
	s_and_saveexec_b32 s1, s16
	s_cbranch_execnz .LBB6_241
.LBB6_209:
	s_or_b32 exec_lo, exec_lo, s1
	s_and_saveexec_b32 s1, s17
	s_cbranch_execnz .LBB6_242
.LBB6_210:
	s_or_b32 exec_lo, exec_lo, s1
	s_and_saveexec_b32 s1, s18
	s_cbranch_execnz .LBB6_243
.LBB6_211:
	s_or_b32 exec_lo, exec_lo, s1
	s_and_saveexec_b32 s1, s19
	s_cbranch_execnz .LBB6_244
.LBB6_212:
	s_or_b32 exec_lo, exec_lo, s1
	s_and_saveexec_b32 s1, s20
	s_cbranch_execnz .LBB6_245
.LBB6_213:
	s_or_b32 exec_lo, exec_lo, s1
	s_and_saveexec_b32 s1, s21
	s_cbranch_execnz .LBB6_246
.LBB6_214:
	s_or_b32 exec_lo, exec_lo, s1
	s_and_saveexec_b32 s1, s22
	s_cbranch_execnz .LBB6_247
.LBB6_215:
	s_or_b32 exec_lo, exec_lo, s1
	s_and_saveexec_b32 s1, s23
	s_cbranch_execnz .LBB6_248
.LBB6_216:
	s_or_b32 exec_lo, exec_lo, s1
	s_and_saveexec_b32 s1, s24
	s_cbranch_execnz .LBB6_249
.LBB6_217:
	s_or_b32 exec_lo, exec_lo, s1
	s_and_saveexec_b32 s1, s25
	s_cbranch_execnz .LBB6_250
.LBB6_218:
	s_or_b32 exec_lo, exec_lo, s1
	s_and_saveexec_b32 s1, s26
	s_cbranch_execnz .LBB6_251
.LBB6_219:
	s_or_b32 exec_lo, exec_lo, s1
	s_and_saveexec_b32 s1, s27
	s_cbranch_execnz .LBB6_252
.LBB6_220:
	s_or_b32 exec_lo, exec_lo, s1
	s_and_saveexec_b32 s1, s28
	s_cbranch_execnz .LBB6_253
.LBB6_221:
	s_or_b32 exec_lo, exec_lo, s1
	s_and_saveexec_b32 s1, s29
	s_cbranch_execnz .LBB6_254
.LBB6_222:
	s_or_b32 exec_lo, exec_lo, s1
	s_and_saveexec_b32 s1, s30
	s_cbranch_execnz .LBB6_255
.LBB6_223:
	s_or_b32 exec_lo, exec_lo, s1
	s_and_saveexec_b32 s1, s31
	s_cbranch_execnz .LBB6_256
.LBB6_224:
	s_or_b32 exec_lo, exec_lo, s1
	s_delay_alu instid0(SALU_CYCLE_1)
	s_and_b32 exec_lo, exec_lo, s0
	s_cbranch_execz .LBB6_226
.LBB6_225:
	v_add_co_u32 v0, vcc_lo, 0x7000, v0
	v_add_co_ci_u32_e32 v1, vcc_lo, 0, v1, vcc_lo
	global_store_b32 v[0:1], v80, off offset:3072
.LBB6_226:
	s_nop 0
	s_sendmsg sendmsg(MSG_DEALLOC_VGPRS)
	s_endpgm
.LBB6_227:
	global_store_b32 v[0:1], v110, off offset:1024
	s_or_b32 exec_lo, exec_lo, s1
	s_and_saveexec_b32 s1, s3
	s_cbranch_execz .LBB6_196
.LBB6_228:
	global_store_b32 v[0:1], v109, off offset:2048
	s_or_b32 exec_lo, exec_lo, s1
	s_and_saveexec_b32 s1, s4
	s_cbranch_execz .LBB6_197
.LBB6_229:
	global_store_b32 v[0:1], v108, off offset:3072
	s_or_b32 exec_lo, exec_lo, s1
	s_and_saveexec_b32 s1, s5
	s_cbranch_execz .LBB6_198
.LBB6_230:
	v_lshlrev_b64 v[2:3], 2, v[6:7]
	s_delay_alu instid0(VALU_DEP_1) | instskip(NEXT) | instid1(VALU_DEP_2)
	v_add_co_u32 v2, vcc_lo, s34, v2
	v_add_co_ci_u32_e32 v3, vcc_lo, s35, v3, vcc_lo
	global_store_b32 v[2:3], v107, off
	s_or_b32 exec_lo, exec_lo, s1
	s_and_saveexec_b32 s1, s6
	s_cbranch_execz .LBB6_199
.LBB6_231:
	v_add_co_u32 v2, vcc_lo, 0x1000, v0
	v_add_co_ci_u32_e32 v3, vcc_lo, 0, v1, vcc_lo
	global_store_b32 v[2:3], v106, off offset:1024
	s_or_b32 exec_lo, exec_lo, s1
	s_and_saveexec_b32 s1, s7
	s_cbranch_execz .LBB6_200
.LBB6_232:
	v_add_co_u32 v2, vcc_lo, 0x1000, v0
	v_add_co_ci_u32_e32 v3, vcc_lo, 0, v1, vcc_lo
	global_store_b32 v[2:3], v105, off offset:2048
	s_or_b32 exec_lo, exec_lo, s1
	s_and_saveexec_b32 s1, s8
	s_cbranch_execz .LBB6_201
.LBB6_233:
	v_add_co_u32 v2, vcc_lo, 0x1000, v0
	v_add_co_ci_u32_e32 v3, vcc_lo, 0, v1, vcc_lo
	global_store_b32 v[2:3], v104, off offset:3072
	s_or_b32 exec_lo, exec_lo, s1
	s_and_saveexec_b32 s1, s9
	s_cbranch_execz .LBB6_202
.LBB6_234:
	v_lshlrev_b64 v[2:3], 2, v[12:13]
	s_delay_alu instid0(VALU_DEP_1) | instskip(NEXT) | instid1(VALU_DEP_2)
	v_add_co_u32 v2, vcc_lo, s34, v2
	v_add_co_ci_u32_e32 v3, vcc_lo, s35, v3, vcc_lo
	global_store_b32 v[2:3], v103, off
	s_or_b32 exec_lo, exec_lo, s1
	s_and_saveexec_b32 s1, s10
	s_cbranch_execz .LBB6_203
.LBB6_235:
	v_add_co_u32 v2, vcc_lo, 0x2000, v0
	v_add_co_ci_u32_e32 v3, vcc_lo, 0, v1, vcc_lo
	global_store_b32 v[2:3], v102, off offset:1024
	s_or_b32 exec_lo, exec_lo, s1
	s_and_saveexec_b32 s1, s11
	s_cbranch_execz .LBB6_204
.LBB6_236:
	v_add_co_u32 v2, vcc_lo, 0x2000, v0
	v_add_co_ci_u32_e32 v3, vcc_lo, 0, v1, vcc_lo
	global_store_b32 v[2:3], v101, off offset:2048
	s_or_b32 exec_lo, exec_lo, s1
	s_and_saveexec_b32 s1, s12
	s_cbranch_execz .LBB6_205
.LBB6_237:
	v_add_co_u32 v2, vcc_lo, 0x2000, v0
	v_add_co_ci_u32_e32 v3, vcc_lo, 0, v1, vcc_lo
	global_store_b32 v[2:3], v100, off offset:3072
	s_or_b32 exec_lo, exec_lo, s1
	s_and_saveexec_b32 s1, s13
	s_cbranch_execz .LBB6_206
.LBB6_238:
	v_lshlrev_b64 v[2:3], 2, v[18:19]
	s_delay_alu instid0(VALU_DEP_1) | instskip(NEXT) | instid1(VALU_DEP_2)
	v_add_co_u32 v2, vcc_lo, s34, v2
	v_add_co_ci_u32_e32 v3, vcc_lo, s35, v3, vcc_lo
	global_store_b32 v[2:3], v99, off
	s_or_b32 exec_lo, exec_lo, s1
	s_and_saveexec_b32 s1, s14
	s_cbranch_execz .LBB6_207
.LBB6_239:
	v_add_co_u32 v2, vcc_lo, 0x3000, v0
	v_add_co_ci_u32_e32 v3, vcc_lo, 0, v1, vcc_lo
	global_store_b32 v[2:3], v98, off offset:1024
	s_or_b32 exec_lo, exec_lo, s1
	s_and_saveexec_b32 s1, s15
	s_cbranch_execz .LBB6_208
.LBB6_240:
	v_add_co_u32 v2, vcc_lo, 0x3000, v0
	v_add_co_ci_u32_e32 v3, vcc_lo, 0, v1, vcc_lo
	global_store_b32 v[2:3], v97, off offset:2048
	s_or_b32 exec_lo, exec_lo, s1
	s_and_saveexec_b32 s1, s16
	s_cbranch_execz .LBB6_209
.LBB6_241:
	v_add_co_u32 v2, vcc_lo, 0x3000, v0
	v_add_co_ci_u32_e32 v3, vcc_lo, 0, v1, vcc_lo
	global_store_b32 v[2:3], v96, off offset:3072
	s_or_b32 exec_lo, exec_lo, s1
	s_and_saveexec_b32 s1, s17
	s_cbranch_execz .LBB6_210
.LBB6_242:
	v_lshlrev_b64 v[2:3], 2, v[24:25]
	s_delay_alu instid0(VALU_DEP_1) | instskip(NEXT) | instid1(VALU_DEP_2)
	v_add_co_u32 v2, vcc_lo, s34, v2
	v_add_co_ci_u32_e32 v3, vcc_lo, s35, v3, vcc_lo
	global_store_b32 v[2:3], v95, off
	s_or_b32 exec_lo, exec_lo, s1
	s_and_saveexec_b32 s1, s18
	s_cbranch_execz .LBB6_211
.LBB6_243:
	v_add_co_u32 v2, vcc_lo, 0x4000, v0
	v_add_co_ci_u32_e32 v3, vcc_lo, 0, v1, vcc_lo
	global_store_b32 v[2:3], v94, off offset:1024
	s_or_b32 exec_lo, exec_lo, s1
	s_and_saveexec_b32 s1, s19
	s_cbranch_execz .LBB6_212
.LBB6_244:
	v_add_co_u32 v2, vcc_lo, 0x4000, v0
	v_add_co_ci_u32_e32 v3, vcc_lo, 0, v1, vcc_lo
	global_store_b32 v[2:3], v93, off offset:2048
	s_or_b32 exec_lo, exec_lo, s1
	s_and_saveexec_b32 s1, s20
	s_cbranch_execz .LBB6_213
.LBB6_245:
	v_add_co_u32 v2, vcc_lo, 0x4000, v0
	v_add_co_ci_u32_e32 v3, vcc_lo, 0, v1, vcc_lo
	global_store_b32 v[2:3], v92, off offset:3072
	s_or_b32 exec_lo, exec_lo, s1
	s_and_saveexec_b32 s1, s21
	s_cbranch_execz .LBB6_214
.LBB6_246:
	v_lshlrev_b64 v[2:3], 2, v[28:29]
	s_delay_alu instid0(VALU_DEP_1) | instskip(NEXT) | instid1(VALU_DEP_2)
	v_add_co_u32 v2, vcc_lo, s34, v2
	v_add_co_ci_u32_e32 v3, vcc_lo, s35, v3, vcc_lo
	global_store_b32 v[2:3], v91, off
	s_or_b32 exec_lo, exec_lo, s1
	s_and_saveexec_b32 s1, s22
	s_cbranch_execz .LBB6_215
.LBB6_247:
	v_add_co_u32 v2, vcc_lo, 0x5000, v0
	v_add_co_ci_u32_e32 v3, vcc_lo, 0, v1, vcc_lo
	global_store_b32 v[2:3], v90, off offset:1024
	s_or_b32 exec_lo, exec_lo, s1
	s_and_saveexec_b32 s1, s23
	s_cbranch_execz .LBB6_216
.LBB6_248:
	v_add_co_u32 v2, vcc_lo, 0x5000, v0
	v_add_co_ci_u32_e32 v3, vcc_lo, 0, v1, vcc_lo
	global_store_b32 v[2:3], v89, off offset:2048
	s_or_b32 exec_lo, exec_lo, s1
	s_and_saveexec_b32 s1, s24
	s_cbranch_execz .LBB6_217
.LBB6_249:
	v_add_co_u32 v2, vcc_lo, 0x5000, v0
	v_add_co_ci_u32_e32 v3, vcc_lo, 0, v1, vcc_lo
	global_store_b32 v[2:3], v88, off offset:3072
	s_or_b32 exec_lo, exec_lo, s1
	s_and_saveexec_b32 s1, s25
	s_cbranch_execz .LBB6_218
.LBB6_250:
	v_lshlrev_b64 v[2:3], 2, v[34:35]
	s_delay_alu instid0(VALU_DEP_1) | instskip(NEXT) | instid1(VALU_DEP_2)
	v_add_co_u32 v2, vcc_lo, s34, v2
	v_add_co_ci_u32_e32 v3, vcc_lo, s35, v3, vcc_lo
	global_store_b32 v[2:3], v87, off
	s_or_b32 exec_lo, exec_lo, s1
	s_and_saveexec_b32 s1, s26
	s_cbranch_execz .LBB6_219
.LBB6_251:
	v_add_co_u32 v2, vcc_lo, 0x6000, v0
	v_add_co_ci_u32_e32 v3, vcc_lo, 0, v1, vcc_lo
	global_store_b32 v[2:3], v86, off offset:1024
	s_or_b32 exec_lo, exec_lo, s1
	s_and_saveexec_b32 s1, s27
	s_cbranch_execz .LBB6_220
.LBB6_252:
	v_add_co_u32 v2, vcc_lo, 0x6000, v0
	v_add_co_ci_u32_e32 v3, vcc_lo, 0, v1, vcc_lo
	global_store_b32 v[2:3], v85, off offset:2048
	s_or_b32 exec_lo, exec_lo, s1
	s_and_saveexec_b32 s1, s28
	s_cbranch_execz .LBB6_221
.LBB6_253:
	v_add_co_u32 v2, vcc_lo, 0x6000, v0
	v_add_co_ci_u32_e32 v3, vcc_lo, 0, v1, vcc_lo
	global_store_b32 v[2:3], v84, off offset:3072
	s_or_b32 exec_lo, exec_lo, s1
	s_and_saveexec_b32 s1, s29
	s_cbranch_execz .LBB6_222
.LBB6_254:
	v_lshlrev_b64 v[2:3], 2, v[40:41]
	s_delay_alu instid0(VALU_DEP_1) | instskip(NEXT) | instid1(VALU_DEP_2)
	v_add_co_u32 v2, vcc_lo, s34, v2
	v_add_co_ci_u32_e32 v3, vcc_lo, s35, v3, vcc_lo
	global_store_b32 v[2:3], v83, off
	s_or_b32 exec_lo, exec_lo, s1
	s_and_saveexec_b32 s1, s30
	s_cbranch_execz .LBB6_223
.LBB6_255:
	v_add_co_u32 v2, vcc_lo, 0x7000, v0
	v_add_co_ci_u32_e32 v3, vcc_lo, 0, v1, vcc_lo
	global_store_b32 v[2:3], v82, off offset:1024
	s_or_b32 exec_lo, exec_lo, s1
	s_and_saveexec_b32 s1, s31
	s_cbranch_execz .LBB6_224
.LBB6_256:
	v_add_co_u32 v2, vcc_lo, 0x7000, v0
	v_add_co_ci_u32_e32 v3, vcc_lo, 0, v1, vcc_lo
	global_store_b32 v[2:3], v81, off offset:2048
	s_or_b32 exec_lo, exec_lo, s1
	s_delay_alu instid0(SALU_CYCLE_1)
	s_and_b32 exec_lo, exec_lo, s0
	s_cbranch_execnz .LBB6_225
	s_branch .LBB6_226
	.section	.rodata,"a",@progbits
	.p2align	6, 0x0
	.amdhsa_kernel _Z10pnpoly_optILi32EEvPiPK15HIP_vector_typeIfLj2EES4_i
		.amdhsa_group_segment_fixed_size 0
		.amdhsa_private_segment_fixed_size 0
		.amdhsa_kernarg_size 28
		.amdhsa_user_sgpr_count 15
		.amdhsa_user_sgpr_dispatch_ptr 0
		.amdhsa_user_sgpr_queue_ptr 0
		.amdhsa_user_sgpr_kernarg_segment_ptr 1
		.amdhsa_user_sgpr_dispatch_id 0
		.amdhsa_user_sgpr_private_segment_size 0
		.amdhsa_wavefront_size32 1
		.amdhsa_uses_dynamic_stack 0
		.amdhsa_enable_private_segment 0
		.amdhsa_system_sgpr_workgroup_id_x 1
		.amdhsa_system_sgpr_workgroup_id_y 0
		.amdhsa_system_sgpr_workgroup_id_z 0
		.amdhsa_system_sgpr_workgroup_info 0
		.amdhsa_system_vgpr_workitem_id 0
		.amdhsa_next_free_vgpr 119
		.amdhsa_next_free_sgpr 46
		.amdhsa_reserve_vcc 1
		.amdhsa_float_round_mode_32 0
		.amdhsa_float_round_mode_16_64 0
		.amdhsa_float_denorm_mode_32 3
		.amdhsa_float_denorm_mode_16_64 3
		.amdhsa_dx10_clamp 1
		.amdhsa_ieee_mode 1
		.amdhsa_fp16_overflow 0
		.amdhsa_workgroup_processor_mode 1
		.amdhsa_memory_ordered 1
		.amdhsa_forward_progress 0
		.amdhsa_shared_vgpr_count 0
		.amdhsa_exception_fp_ieee_invalid_op 0
		.amdhsa_exception_fp_denorm_src 0
		.amdhsa_exception_fp_ieee_div_zero 0
		.amdhsa_exception_fp_ieee_overflow 0
		.amdhsa_exception_fp_ieee_underflow 0
		.amdhsa_exception_fp_ieee_inexact 0
		.amdhsa_exception_int_div_zero 0
	.end_amdhsa_kernel
	.section	.text._Z10pnpoly_optILi32EEvPiPK15HIP_vector_typeIfLj2EES4_i,"axG",@progbits,_Z10pnpoly_optILi32EEvPiPK15HIP_vector_typeIfLj2EES4_i,comdat
.Lfunc_end6:
	.size	_Z10pnpoly_optILi32EEvPiPK15HIP_vector_typeIfLj2EES4_i, .Lfunc_end6-_Z10pnpoly_optILi32EEvPiPK15HIP_vector_typeIfLj2EES4_i
                                        ; -- End function
	.section	.AMDGPU.csdata,"",@progbits
; Kernel info:
; codeLenInByte = 6348
; NumSgprs: 48
; NumVgprs: 119
; ScratchSize: 0
; MemoryBound: 0
; FloatMode: 240
; IeeeMode: 1
; LDSByteSize: 0 bytes/workgroup (compile time only)
; SGPRBlocks: 5
; VGPRBlocks: 14
; NumSGPRsForWavesPerEU: 48
; NumVGPRsForWavesPerEU: 119
; Occupancy: 12
; WaveLimiterHint : 0
; COMPUTE_PGM_RSRC2:SCRATCH_EN: 0
; COMPUTE_PGM_RSRC2:USER_SGPR: 15
; COMPUTE_PGM_RSRC2:TRAP_HANDLER: 0
; COMPUTE_PGM_RSRC2:TGID_X_EN: 1
; COMPUTE_PGM_RSRC2:TGID_Y_EN: 0
; COMPUTE_PGM_RSRC2:TGID_Z_EN: 0
; COMPUTE_PGM_RSRC2:TIDIG_COMP_CNT: 0
	.section	.text._Z10pnpoly_optILi64EEvPiPK15HIP_vector_typeIfLj2EES4_i,"axG",@progbits,_Z10pnpoly_optILi64EEvPiPK15HIP_vector_typeIfLj2EES4_i,comdat
	.protected	_Z10pnpoly_optILi64EEvPiPK15HIP_vector_typeIfLj2EES4_i ; -- Begin function _Z10pnpoly_optILi64EEvPiPK15HIP_vector_typeIfLj2EES4_i
	.globl	_Z10pnpoly_optILi64EEvPiPK15HIP_vector_typeIfLj2EES4_i
	.p2align	8
	.type	_Z10pnpoly_optILi64EEvPiPK15HIP_vector_typeIfLj2EES4_i,@function
_Z10pnpoly_optILi64EEvPiPK15HIP_vector_typeIfLj2EES4_i: ; @_Z10pnpoly_optILi64EEvPiPK15HIP_vector_typeIfLj2EES4_i
; %bb.0:
	s_load_b32 s70, s[0:1], 0x18
	v_lshl_or_b32 v0, s15, 14, v0
	s_mov_b32 s2, exec_lo
	s_waitcnt lgkmcnt(0)
	s_delay_alu instid0(VALU_DEP_1)
	v_cmpx_gt_i32_e64 s70, v0
	s_cbranch_execz .LBB7_450
; %bb.1:
	s_load_b64 s[64:65], s[0:1], 0x8
	v_ashrrev_i32_e32 v1, 31, v0
	v_add_nc_u32_e32 v4, 0x100, v0
                                        ; implicit-def: $vgpr5
	s_delay_alu instid0(VALU_DEP_2) | instskip(NEXT) | instid1(VALU_DEP_2)
	v_lshlrev_b64 v[2:3], 3, v[0:1]
	v_cmp_gt_i32_e64 s2, s70, v4
	s_waitcnt lgkmcnt(0)
	s_delay_alu instid0(VALU_DEP_2) | instskip(NEXT) | instid1(VALU_DEP_3)
	v_add_co_u32 v160, vcc_lo, s64, v2
	v_add_co_ci_u32_e32 v161, vcc_lo, s65, v3, vcc_lo
	global_load_b64 v[2:3], v[160:161], off
	s_and_saveexec_b32 s3, s2
	s_cbranch_execz .LBB7_3
; %bb.2:
	global_load_b64 v[4:5], v[160:161], off offset:2048
.LBB7_3:
	s_or_b32 exec_lo, exec_lo, s3
	v_add_nc_u32_e32 v6, 0x200, v0
                                        ; implicit-def: $vgpr9
	s_delay_alu instid0(VALU_DEP_1) | instskip(NEXT) | instid1(VALU_DEP_1)
	v_cmp_gt_i32_e64 s3, s70, v6
	s_and_saveexec_b32 s4, s3
	s_cbranch_execz .LBB7_5
; %bb.4:
	v_add_co_u32 v6, vcc_lo, 0x1000, v160
	v_add_co_ci_u32_e32 v7, vcc_lo, 0, v161, vcc_lo
	global_load_b64 v[8:9], v[6:7], off
.LBB7_5:
	s_or_b32 exec_lo, exec_lo, s4
	v_add_nc_u32_e32 v6, 0x300, v0
                                        ; implicit-def: $vgpr11
	s_delay_alu instid0(VALU_DEP_1) | instskip(NEXT) | instid1(VALU_DEP_1)
	v_cmp_gt_i32_e64 s4, s70, v6
	s_and_saveexec_b32 s5, s4
	s_cbranch_execz .LBB7_7
; %bb.6:
	v_add_co_u32 v6, vcc_lo, 0x1000, v160
	v_add_co_ci_u32_e32 v7, vcc_lo, 0, v161, vcc_lo
	global_load_b64 v[10:11], v[6:7], off offset:2048
.LBB7_7:
	s_or_b32 exec_lo, exec_lo, s5
	v_or_b32_e32 v6, 0x400, v0
                                        ; implicit-def: $vgpr15
	s_delay_alu instid0(VALU_DEP_1)
	v_cmp_gt_i32_e64 s5, s70, v6
	v_ashrrev_i32_e32 v7, 31, v6
	scratch_store_b64 off, v[6:7], off offset:36 ; 8-byte Folded Spill
	s_and_saveexec_b32 s6, s5
	s_cbranch_execz .LBB7_9
; %bb.8:
	scratch_load_b64 v[6:7], off, off offset:36 ; 8-byte Folded Reload
	s_waitcnt vmcnt(0)
	v_lshlrev_b64 v[6:7], 3, v[6:7]
	s_delay_alu instid0(VALU_DEP_1) | instskip(NEXT) | instid1(VALU_DEP_2)
	v_add_co_u32 v6, vcc_lo, s64, v6
	v_add_co_ci_u32_e32 v7, vcc_lo, s65, v7, vcc_lo
	global_load_b64 v[14:15], v[6:7], off
.LBB7_9:
	s_or_b32 exec_lo, exec_lo, s6
	v_add_nc_u32_e32 v6, 0x500, v0
                                        ; implicit-def: $vgpr17
	s_delay_alu instid0(VALU_DEP_1) | instskip(NEXT) | instid1(VALU_DEP_1)
	v_cmp_gt_i32_e64 s6, s70, v6
	s_and_saveexec_b32 s7, s6
	s_cbranch_execz .LBB7_11
; %bb.10:
	v_add_co_u32 v6, vcc_lo, 0x2000, v160
	v_add_co_ci_u32_e32 v7, vcc_lo, 0, v161, vcc_lo
	global_load_b64 v[16:17], v[6:7], off offset:2048
.LBB7_11:
	s_or_b32 exec_lo, exec_lo, s7
	v_add_nc_u32_e32 v6, 0x600, v0
                                        ; implicit-def: $vgpr21
	s_delay_alu instid0(VALU_DEP_1) | instskip(NEXT) | instid1(VALU_DEP_1)
	v_cmp_gt_i32_e64 s7, s70, v6
	s_and_saveexec_b32 s8, s7
	s_cbranch_execz .LBB7_13
; %bb.12:
	v_add_co_u32 v6, vcc_lo, 0x3000, v160
	v_add_co_ci_u32_e32 v7, vcc_lo, 0, v161, vcc_lo
	global_load_b64 v[20:21], v[6:7], off
.LBB7_13:
	s_or_b32 exec_lo, exec_lo, s8
	v_add_nc_u32_e32 v6, 0x700, v0
                                        ; implicit-def: $vgpr23
	s_delay_alu instid0(VALU_DEP_1) | instskip(NEXT) | instid1(VALU_DEP_1)
	v_cmp_gt_i32_e64 s8, s70, v6
	s_and_saveexec_b32 s9, s8
	s_cbranch_execz .LBB7_15
; %bb.14:
	v_add_co_u32 v6, vcc_lo, 0x3000, v160
	v_add_co_ci_u32_e32 v7, vcc_lo, 0, v161, vcc_lo
	global_load_b64 v[22:23], v[6:7], off offset:2048
.LBB7_15:
	s_or_b32 exec_lo, exec_lo, s9
	v_or_b32_e32 v6, 0x800, v0
                                        ; implicit-def: $vgpr27
	s_delay_alu instid0(VALU_DEP_1)
	v_cmp_gt_i32_e64 s9, s70, v6
	v_ashrrev_i32_e32 v7, 31, v6
	scratch_store_b64 off, v[6:7], off offset:44 ; 8-byte Folded Spill
	s_and_saveexec_b32 s10, s9
	s_cbranch_execz .LBB7_17
; %bb.16:
	scratch_load_b64 v[6:7], off, off offset:44 ; 8-byte Folded Reload
	s_waitcnt vmcnt(0)
	v_lshlrev_b64 v[6:7], 3, v[6:7]
	s_delay_alu instid0(VALU_DEP_1) | instskip(NEXT) | instid1(VALU_DEP_2)
	v_add_co_u32 v6, vcc_lo, s64, v6
	v_add_co_ci_u32_e32 v7, vcc_lo, s65, v7, vcc_lo
	global_load_b64 v[26:27], v[6:7], off
.LBB7_17:
	s_or_b32 exec_lo, exec_lo, s10
	v_add_nc_u32_e32 v6, 0x900, v0
                                        ; implicit-def: $vgpr31
	s_delay_alu instid0(VALU_DEP_1) | instskip(NEXT) | instid1(VALU_DEP_1)
	v_cmp_gt_i32_e64 s10, s70, v6
	s_and_saveexec_b32 s11, s10
	s_cbranch_execz .LBB7_19
; %bb.18:
	v_add_co_u32 v6, vcc_lo, 0x4000, v160
	v_add_co_ci_u32_e32 v7, vcc_lo, 0, v161, vcc_lo
	global_load_b64 v[30:31], v[6:7], off offset:2048
.LBB7_19:
	s_or_b32 exec_lo, exec_lo, s11
	v_add_nc_u32_e32 v6, 0xa00, v0
                                        ; implicit-def: $vgpr33
	s_delay_alu instid0(VALU_DEP_1) | instskip(NEXT) | instid1(VALU_DEP_1)
	v_cmp_gt_i32_e64 s11, s70, v6
	s_and_saveexec_b32 s12, s11
	s_cbranch_execz .LBB7_21
; %bb.20:
	v_add_co_u32 v6, vcc_lo, 0x5000, v160
	v_add_co_ci_u32_e32 v7, vcc_lo, 0, v161, vcc_lo
	global_load_b64 v[32:33], v[6:7], off
.LBB7_21:
	s_or_b32 exec_lo, exec_lo, s12
	v_add_nc_u32_e32 v6, 0xb00, v0
                                        ; implicit-def: $vgpr37
	s_delay_alu instid0(VALU_DEP_1) | instskip(NEXT) | instid1(VALU_DEP_1)
	v_cmp_gt_i32_e64 s12, s70, v6
	s_and_saveexec_b32 s13, s12
	s_cbranch_execz .LBB7_23
; %bb.22:
	v_add_co_u32 v6, vcc_lo, 0x5000, v160
	v_add_co_ci_u32_e32 v7, vcc_lo, 0, v161, vcc_lo
	global_load_b64 v[36:37], v[6:7], off offset:2048
.LBB7_23:
	s_or_b32 exec_lo, exec_lo, s13
	v_or_b32_e32 v6, 0xc00, v0
                                        ; implicit-def: $vgpr39
	s_delay_alu instid0(VALU_DEP_1)
	v_cmp_gt_i32_e64 s13, s70, v6
	v_ashrrev_i32_e32 v7, 31, v6
	scratch_store_b64 off, v[6:7], off offset:52 ; 8-byte Folded Spill
	s_and_saveexec_b32 s14, s13
	s_cbranch_execz .LBB7_25
; %bb.24:
	scratch_load_b64 v[6:7], off, off offset:52 ; 8-byte Folded Reload
	s_waitcnt vmcnt(0)
	v_lshlrev_b64 v[6:7], 3, v[6:7]
	s_delay_alu instid0(VALU_DEP_1) | instskip(NEXT) | instid1(VALU_DEP_2)
	v_add_co_u32 v6, vcc_lo, s64, v6
	v_add_co_ci_u32_e32 v7, vcc_lo, s65, v7, vcc_lo
	global_load_b64 v[38:39], v[6:7], off
.LBB7_25:
	s_or_b32 exec_lo, exec_lo, s14
	v_add_nc_u32_e32 v6, 0xd00, v0
                                        ; implicit-def: $vgpr43
	s_delay_alu instid0(VALU_DEP_1) | instskip(NEXT) | instid1(VALU_DEP_1)
	v_cmp_gt_i32_e64 s14, s70, v6
	s_and_saveexec_b32 s15, s14
	s_cbranch_execz .LBB7_27
; %bb.26:
	v_add_co_u32 v6, vcc_lo, 0x6000, v160
	v_add_co_ci_u32_e32 v7, vcc_lo, 0, v161, vcc_lo
	global_load_b64 v[42:43], v[6:7], off offset:2048
.LBB7_27:
	s_or_b32 exec_lo, exec_lo, s15
	v_add_nc_u32_e32 v6, 0xe00, v0
                                        ; implicit-def: $vgpr47
	s_delay_alu instid0(VALU_DEP_1) | instskip(NEXT) | instid1(VALU_DEP_1)
	v_cmp_gt_i32_e64 s15, s70, v6
	s_and_saveexec_b32 s16, s15
	s_cbranch_execz .LBB7_29
; %bb.28:
	v_add_co_u32 v6, vcc_lo, 0x7000, v160
	v_add_co_ci_u32_e32 v7, vcc_lo, 0, v161, vcc_lo
	global_load_b64 v[46:47], v[6:7], off
.LBB7_29:
	s_or_b32 exec_lo, exec_lo, s16
	v_add_nc_u32_e32 v6, 0xf00, v0
                                        ; implicit-def: $vgpr49
	s_delay_alu instid0(VALU_DEP_1) | instskip(NEXT) | instid1(VALU_DEP_1)
	v_cmp_gt_i32_e64 s16, s70, v6
	s_and_saveexec_b32 s17, s16
	s_cbranch_execz .LBB7_31
; %bb.30:
	v_add_co_u32 v6, vcc_lo, 0x7000, v160
	v_add_co_ci_u32_e32 v7, vcc_lo, 0, v161, vcc_lo
	global_load_b64 v[48:49], v[6:7], off offset:2048
.LBB7_31:
	s_or_b32 exec_lo, exec_lo, s17
	v_or_b32_e32 v6, 0x1000, v0
                                        ; implicit-def: $vgpr53
	s_delay_alu instid0(VALU_DEP_1)
	v_cmp_gt_i32_e64 s17, s70, v6
	v_ashrrev_i32_e32 v7, 31, v6
	scratch_store_b64 off, v[6:7], off offset:60 ; 8-byte Folded Spill
	s_and_saveexec_b32 s18, s17
	s_cbranch_execz .LBB7_33
; %bb.32:
	scratch_load_b64 v[6:7], off, off offset:60 ; 8-byte Folded Reload
	s_waitcnt vmcnt(0)
	v_lshlrev_b64 v[6:7], 3, v[6:7]
	s_delay_alu instid0(VALU_DEP_1) | instskip(NEXT) | instid1(VALU_DEP_2)
	v_add_co_u32 v6, vcc_lo, s64, v6
	v_add_co_ci_u32_e32 v7, vcc_lo, s65, v7, vcc_lo
	global_load_b64 v[52:53], v[6:7], off
.LBB7_33:
	s_or_b32 exec_lo, exec_lo, s18
	v_add_nc_u32_e32 v6, 0x1100, v0
                                        ; implicit-def: $vgpr55
	s_delay_alu instid0(VALU_DEP_1) | instskip(NEXT) | instid1(VALU_DEP_1)
	v_cmp_gt_i32_e64 s18, s70, v6
	s_and_saveexec_b32 s19, s18
	s_cbranch_execz .LBB7_35
; %bb.34:
	v_add_co_u32 v6, vcc_lo, 0x8000, v160
	v_add_co_ci_u32_e32 v7, vcc_lo, 0, v161, vcc_lo
	global_load_b64 v[54:55], v[6:7], off offset:2048
.LBB7_35:
	s_or_b32 exec_lo, exec_lo, s19
	v_add_nc_u32_e32 v6, 0x1200, v0
                                        ; implicit-def: $vgpr59
	s_delay_alu instid0(VALU_DEP_1) | instskip(NEXT) | instid1(VALU_DEP_1)
	v_cmp_gt_i32_e64 s19, s70, v6
	s_and_saveexec_b32 s20, s19
	s_cbranch_execz .LBB7_37
; %bb.36:
	v_add_co_u32 v6, vcc_lo, 0x9000, v160
	v_add_co_ci_u32_e32 v7, vcc_lo, 0, v161, vcc_lo
	global_load_b64 v[58:59], v[6:7], off
.LBB7_37:
	s_or_b32 exec_lo, exec_lo, s20
	v_add_nc_u32_e32 v6, 0x1300, v0
                                        ; implicit-def: $vgpr63
	s_delay_alu instid0(VALU_DEP_1) | instskip(NEXT) | instid1(VALU_DEP_1)
	v_cmp_gt_i32_e64 s20, s70, v6
	s_and_saveexec_b32 s21, s20
	s_cbranch_execz .LBB7_39
; %bb.38:
	v_add_co_u32 v6, vcc_lo, 0x9000, v160
	v_add_co_ci_u32_e32 v7, vcc_lo, 0, v161, vcc_lo
	global_load_b64 v[62:63], v[6:7], off offset:2048
.LBB7_39:
	s_or_b32 exec_lo, exec_lo, s21
	v_or_b32_e32 v6, 0x1400, v0
                                        ; implicit-def: $vgpr65
	s_delay_alu instid0(VALU_DEP_1)
	v_cmp_gt_i32_e64 s21, s70, v6
	v_ashrrev_i32_e32 v7, 31, v6
	scratch_store_b64 off, v[6:7], off offset:68 ; 8-byte Folded Spill
	s_and_saveexec_b32 s22, s21
	s_cbranch_execz .LBB7_41
; %bb.40:
	scratch_load_b64 v[6:7], off, off offset:68 ; 8-byte Folded Reload
	s_waitcnt vmcnt(0)
	v_lshlrev_b64 v[6:7], 3, v[6:7]
	s_delay_alu instid0(VALU_DEP_1) | instskip(NEXT) | instid1(VALU_DEP_2)
	v_add_co_u32 v6, vcc_lo, s64, v6
	v_add_co_ci_u32_e32 v7, vcc_lo, s65, v7, vcc_lo
	global_load_b64 v[64:65], v[6:7], off
.LBB7_41:
	s_or_b32 exec_lo, exec_lo, s22
	v_add_nc_u32_e32 v6, 0x1500, v0
                                        ; implicit-def: $vgpr69
	s_delay_alu instid0(VALU_DEP_1) | instskip(NEXT) | instid1(VALU_DEP_1)
	v_cmp_gt_i32_e64 s22, s70, v6
	s_and_saveexec_b32 s23, s22
	s_cbranch_execz .LBB7_43
; %bb.42:
	v_add_co_u32 v6, vcc_lo, 0xa000, v160
	v_add_co_ci_u32_e32 v7, vcc_lo, 0, v161, vcc_lo
	global_load_b64 v[68:69], v[6:7], off offset:2048
.LBB7_43:
	s_or_b32 exec_lo, exec_lo, s23
	v_add_nc_u32_e32 v6, 0x1600, v0
                                        ; implicit-def: $vgpr71
	s_delay_alu instid0(VALU_DEP_1) | instskip(NEXT) | instid1(VALU_DEP_1)
	v_cmp_gt_i32_e64 s23, s70, v6
	s_and_saveexec_b32 s24, s23
	s_cbranch_execz .LBB7_45
; %bb.44:
	v_add_co_u32 v6, vcc_lo, 0xb000, v160
	v_add_co_ci_u32_e32 v7, vcc_lo, 0, v161, vcc_lo
	global_load_b64 v[70:71], v[6:7], off
.LBB7_45:
	s_or_b32 exec_lo, exec_lo, s24
	v_add_nc_u32_e32 v6, 0x1700, v0
                                        ; implicit-def: $vgpr75
	s_delay_alu instid0(VALU_DEP_1) | instskip(NEXT) | instid1(VALU_DEP_1)
	v_cmp_gt_i32_e64 s24, s70, v6
	s_and_saveexec_b32 s25, s24
	s_cbranch_execz .LBB7_47
; %bb.46:
	v_add_co_u32 v6, vcc_lo, 0xb000, v160
	v_add_co_ci_u32_e32 v7, vcc_lo, 0, v161, vcc_lo
	global_load_b64 v[74:75], v[6:7], off offset:2048
.LBB7_47:
	s_or_b32 exec_lo, exec_lo, s25
	v_or_b32_e32 v6, 0x1800, v0
                                        ; implicit-def: $vgpr79
	s_delay_alu instid0(VALU_DEP_1)
	v_cmp_gt_i32_e64 s25, s70, v6
	v_ashrrev_i32_e32 v7, 31, v6
	scratch_store_b64 off, v[6:7], off offset:76 ; 8-byte Folded Spill
	s_and_saveexec_b32 s26, s25
	s_cbranch_execz .LBB7_49
; %bb.48:
	scratch_load_b64 v[6:7], off, off offset:76 ; 8-byte Folded Reload
	s_waitcnt vmcnt(0)
	v_lshlrev_b64 v[6:7], 3, v[6:7]
	s_delay_alu instid0(VALU_DEP_1) | instskip(NEXT) | instid1(VALU_DEP_2)
	v_add_co_u32 v6, vcc_lo, s64, v6
	v_add_co_ci_u32_e32 v7, vcc_lo, s65, v7, vcc_lo
	global_load_b64 v[78:79], v[6:7], off
.LBB7_49:
	s_or_b32 exec_lo, exec_lo, s26
	v_add_nc_u32_e32 v6, 0x1900, v0
                                        ; implicit-def: $vgpr81
	s_delay_alu instid0(VALU_DEP_1) | instskip(NEXT) | instid1(VALU_DEP_1)
	v_cmp_gt_i32_e64 s26, s70, v6
	s_and_saveexec_b32 s27, s26
	s_cbranch_execz .LBB7_51
; %bb.50:
	v_add_co_u32 v6, vcc_lo, 0xc000, v160
	v_add_co_ci_u32_e32 v7, vcc_lo, 0, v161, vcc_lo
	global_load_b64 v[80:81], v[6:7], off offset:2048
.LBB7_51:
	s_or_b32 exec_lo, exec_lo, s27
	v_add_nc_u32_e32 v6, 0x1a00, v0
                                        ; implicit-def: $vgpr85
	s_delay_alu instid0(VALU_DEP_1) | instskip(NEXT) | instid1(VALU_DEP_1)
	v_cmp_gt_i32_e64 s27, s70, v6
	s_and_saveexec_b32 s28, s27
	s_cbranch_execz .LBB7_53
; %bb.52:
	v_add_co_u32 v6, vcc_lo, 0xd000, v160
	v_add_co_ci_u32_e32 v7, vcc_lo, 0, v161, vcc_lo
	global_load_b64 v[84:85], v[6:7], off
.LBB7_53:
	s_or_b32 exec_lo, exec_lo, s28
	v_add_nc_u32_e32 v6, 0x1b00, v0
                                        ; implicit-def: $vgpr87
	s_delay_alu instid0(VALU_DEP_1) | instskip(NEXT) | instid1(VALU_DEP_1)
	v_cmp_gt_i32_e64 s28, s70, v6
	s_and_saveexec_b32 s29, s28
	s_cbranch_execz .LBB7_55
; %bb.54:
	v_add_co_u32 v6, vcc_lo, 0xd000, v160
	v_add_co_ci_u32_e32 v7, vcc_lo, 0, v161, vcc_lo
	global_load_b64 v[86:87], v[6:7], off offset:2048
.LBB7_55:
	s_or_b32 exec_lo, exec_lo, s29
	v_or_b32_e32 v6, 0x1c00, v0
                                        ; implicit-def: $vgpr89
	s_delay_alu instid0(VALU_DEP_1)
	v_cmp_gt_i32_e64 s29, s70, v6
	v_ashrrev_i32_e32 v7, 31, v6
	scratch_store_b64 off, v[6:7], off offset:84 ; 8-byte Folded Spill
	s_and_saveexec_b32 s30, s29
	s_cbranch_execz .LBB7_57
; %bb.56:
	scratch_load_b64 v[6:7], off, off offset:84 ; 8-byte Folded Reload
	s_waitcnt vmcnt(0)
	v_lshlrev_b64 v[6:7], 3, v[6:7]
	s_delay_alu instid0(VALU_DEP_1) | instskip(NEXT) | instid1(VALU_DEP_2)
	v_add_co_u32 v6, vcc_lo, s64, v6
	v_add_co_ci_u32_e32 v7, vcc_lo, s65, v7, vcc_lo
	global_load_b64 v[88:89], v[6:7], off
.LBB7_57:
	s_or_b32 exec_lo, exec_lo, s30
	v_add_nc_u32_e32 v6, 0x1d00, v0
                                        ; implicit-def: $vgpr91
	s_delay_alu instid0(VALU_DEP_1) | instskip(NEXT) | instid1(VALU_DEP_1)
	v_cmp_gt_i32_e64 s30, s70, v6
	s_and_saveexec_b32 s31, s30
	s_cbranch_execz .LBB7_59
; %bb.58:
	v_add_co_u32 v6, vcc_lo, 0xe000, v160
	v_add_co_ci_u32_e32 v7, vcc_lo, 0, v161, vcc_lo
	global_load_b64 v[90:91], v[6:7], off offset:2048
.LBB7_59:
	s_or_b32 exec_lo, exec_lo, s31
	v_add_nc_u32_e32 v6, 0x1e00, v0
                                        ; implicit-def: $vgpr93
	s_delay_alu instid0(VALU_DEP_1) | instskip(NEXT) | instid1(VALU_DEP_1)
	v_cmp_gt_i32_e64 s31, s70, v6
	s_and_saveexec_b32 s33, s31
	s_cbranch_execz .LBB7_61
; %bb.60:
	v_add_co_u32 v6, vcc_lo, 0xf000, v160
	v_add_co_ci_u32_e32 v7, vcc_lo, 0, v161, vcc_lo
	global_load_b64 v[92:93], v[6:7], off
.LBB7_61:
	s_or_b32 exec_lo, exec_lo, s33
	v_add_nc_u32_e32 v6, 0x1f00, v0
                                        ; implicit-def: $vgpr95
	s_delay_alu instid0(VALU_DEP_1) | instskip(NEXT) | instid1(VALU_DEP_1)
	v_cmp_gt_i32_e64 s33, s70, v6
	s_and_saveexec_b32 s34, s33
	s_cbranch_execz .LBB7_63
; %bb.62:
	v_add_co_u32 v6, vcc_lo, 0xf000, v160
	v_add_co_ci_u32_e32 v7, vcc_lo, 0, v161, vcc_lo
	global_load_b64 v[94:95], v[6:7], off offset:2048
.LBB7_63:
	s_or_b32 exec_lo, exec_lo, s34
	v_or_b32_e32 v6, 0x2000, v0
                                        ; implicit-def: $vgpr97
	s_delay_alu instid0(VALU_DEP_1)
	v_cmp_gt_i32_e64 s34, s70, v6
	v_ashrrev_i32_e32 v7, 31, v6
	scratch_store_b64 off, v[6:7], off offset:92 ; 8-byte Folded Spill
	s_and_saveexec_b32 s35, s34
	s_cbranch_execz .LBB7_65
; %bb.64:
	scratch_load_b64 v[6:7], off, off offset:92 ; 8-byte Folded Reload
	s_waitcnt vmcnt(0)
	v_lshlrev_b64 v[6:7], 3, v[6:7]
	s_delay_alu instid0(VALU_DEP_1) | instskip(NEXT) | instid1(VALU_DEP_2)
	v_add_co_u32 v6, vcc_lo, s64, v6
	v_add_co_ci_u32_e32 v7, vcc_lo, s65, v7, vcc_lo
	global_load_b64 v[96:97], v[6:7], off
.LBB7_65:
	s_or_b32 exec_lo, exec_lo, s35
	v_add_nc_u32_e32 v6, 0x2100, v0
                                        ; implicit-def: $vgpr99
	s_delay_alu instid0(VALU_DEP_1) | instskip(NEXT) | instid1(VALU_DEP_1)
	v_cmp_gt_i32_e64 s35, s70, v6
	s_and_saveexec_b32 s36, s35
	s_cbranch_execz .LBB7_67
; %bb.66:
	v_add_co_u32 v6, vcc_lo, 0x10000, v160
	v_add_co_ci_u32_e32 v7, vcc_lo, 0, v161, vcc_lo
	global_load_b64 v[98:99], v[6:7], off offset:2048
.LBB7_67:
	s_or_b32 exec_lo, exec_lo, s36
	v_add_nc_u32_e32 v6, 0x2200, v0
                                        ; implicit-def: $vgpr101
	s_delay_alu instid0(VALU_DEP_1) | instskip(NEXT) | instid1(VALU_DEP_1)
	v_cmp_gt_i32_e64 s36, s70, v6
	s_and_saveexec_b32 s37, s36
	s_cbranch_execz .LBB7_69
; %bb.68:
	v_add_co_u32 v6, vcc_lo, 0x11000, v160
	v_add_co_ci_u32_e32 v7, vcc_lo, 0, v161, vcc_lo
	global_load_b64 v[100:101], v[6:7], off
.LBB7_69:
	s_or_b32 exec_lo, exec_lo, s37
	v_add_nc_u32_e32 v6, 0x2300, v0
                                        ; implicit-def: $vgpr103
	s_delay_alu instid0(VALU_DEP_1) | instskip(NEXT) | instid1(VALU_DEP_1)
	v_cmp_gt_i32_e64 s37, s70, v6
	s_and_saveexec_b32 s38, s37
	s_cbranch_execz .LBB7_71
; %bb.70:
	v_add_co_u32 v6, vcc_lo, 0x11000, v160
	v_add_co_ci_u32_e32 v7, vcc_lo, 0, v161, vcc_lo
	global_load_b64 v[102:103], v[6:7], off offset:2048
.LBB7_71:
	s_or_b32 exec_lo, exec_lo, s38
	v_or_b32_e32 v6, 0x2400, v0
                                        ; implicit-def: $vgpr105
	s_delay_alu instid0(VALU_DEP_1)
	v_cmp_gt_i32_e64 s38, s70, v6
	v_ashrrev_i32_e32 v7, 31, v6
	scratch_store_b64 off, v[6:7], off offset:100 ; 8-byte Folded Spill
	s_and_saveexec_b32 s39, s38
	s_cbranch_execz .LBB7_73
; %bb.72:
	scratch_load_b64 v[6:7], off, off offset:100 ; 8-byte Folded Reload
	s_waitcnt vmcnt(0)
	v_lshlrev_b64 v[6:7], 3, v[6:7]
	s_delay_alu instid0(VALU_DEP_1) | instskip(NEXT) | instid1(VALU_DEP_2)
	v_add_co_u32 v6, vcc_lo, s64, v6
	v_add_co_ci_u32_e32 v7, vcc_lo, s65, v7, vcc_lo
	global_load_b64 v[104:105], v[6:7], off
.LBB7_73:
	s_or_b32 exec_lo, exec_lo, s39
	v_add_nc_u32_e32 v6, 0x2500, v0
                                        ; implicit-def: $vgpr107
	s_delay_alu instid0(VALU_DEP_1) | instskip(NEXT) | instid1(VALU_DEP_1)
	v_cmp_gt_i32_e64 s39, s70, v6
	s_and_saveexec_b32 s40, s39
	s_cbranch_execz .LBB7_75
; %bb.74:
	v_add_co_u32 v6, vcc_lo, 0x12000, v160
	v_add_co_ci_u32_e32 v7, vcc_lo, 0, v161, vcc_lo
	global_load_b64 v[106:107], v[6:7], off offset:2048
.LBB7_75:
	s_or_b32 exec_lo, exec_lo, s40
	v_add_nc_u32_e32 v6, 0x2600, v0
                                        ; implicit-def: $vgpr109
	s_delay_alu instid0(VALU_DEP_1) | instskip(NEXT) | instid1(VALU_DEP_1)
	v_cmp_gt_i32_e64 s40, s70, v6
	s_and_saveexec_b32 s41, s40
	s_cbranch_execz .LBB7_77
; %bb.76:
	v_add_co_u32 v6, vcc_lo, 0x13000, v160
	v_add_co_ci_u32_e32 v7, vcc_lo, 0, v161, vcc_lo
	global_load_b64 v[108:109], v[6:7], off
.LBB7_77:
	s_or_b32 exec_lo, exec_lo, s41
	v_add_nc_u32_e32 v6, 0x2700, v0
                                        ; implicit-def: $vgpr111
	s_delay_alu instid0(VALU_DEP_1) | instskip(NEXT) | instid1(VALU_DEP_1)
	v_cmp_gt_i32_e64 s41, s70, v6
	s_and_saveexec_b32 s42, s41
	s_cbranch_execz .LBB7_79
; %bb.78:
	v_add_co_u32 v6, vcc_lo, 0x13000, v160
	v_add_co_ci_u32_e32 v7, vcc_lo, 0, v161, vcc_lo
	global_load_b64 v[110:111], v[6:7], off offset:2048
.LBB7_79:
	s_or_b32 exec_lo, exec_lo, s42
	v_or_b32_e32 v6, 0x2800, v0
                                        ; implicit-def: $vgpr113
	s_delay_alu instid0(VALU_DEP_1)
	v_cmp_gt_i32_e64 s42, s70, v6
	v_ashrrev_i32_e32 v7, 31, v6
	scratch_store_b64 off, v[6:7], off offset:108 ; 8-byte Folded Spill
	s_and_saveexec_b32 s43, s42
	s_cbranch_execz .LBB7_81
; %bb.80:
	scratch_load_b64 v[6:7], off, off offset:108 ; 8-byte Folded Reload
	s_waitcnt vmcnt(0)
	v_lshlrev_b64 v[6:7], 3, v[6:7]
	s_delay_alu instid0(VALU_DEP_1) | instskip(NEXT) | instid1(VALU_DEP_2)
	v_add_co_u32 v6, vcc_lo, s64, v6
	v_add_co_ci_u32_e32 v7, vcc_lo, s65, v7, vcc_lo
	global_load_b64 v[112:113], v[6:7], off
.LBB7_81:
	s_or_b32 exec_lo, exec_lo, s43
	v_add_nc_u32_e32 v6, 0x2900, v0
                                        ; implicit-def: $vgpr115
	s_delay_alu instid0(VALU_DEP_1) | instskip(NEXT) | instid1(VALU_DEP_1)
	v_cmp_gt_i32_e64 s43, s70, v6
	s_and_saveexec_b32 s44, s43
	s_cbranch_execz .LBB7_83
; %bb.82:
	v_add_co_u32 v6, vcc_lo, 0x14000, v160
	v_add_co_ci_u32_e32 v7, vcc_lo, 0, v161, vcc_lo
	global_load_b64 v[114:115], v[6:7], off offset:2048
.LBB7_83:
	s_or_b32 exec_lo, exec_lo, s44
	v_add_nc_u32_e32 v6, 0x2a00, v0
                                        ; implicit-def: $vgpr117
	s_delay_alu instid0(VALU_DEP_1) | instskip(NEXT) | instid1(VALU_DEP_1)
	v_cmp_gt_i32_e64 s44, s70, v6
	s_and_saveexec_b32 s45, s44
	s_cbranch_execz .LBB7_85
; %bb.84:
	v_add_co_u32 v6, vcc_lo, 0x15000, v160
	v_add_co_ci_u32_e32 v7, vcc_lo, 0, v161, vcc_lo
	global_load_b64 v[116:117], v[6:7], off
.LBB7_85:
	s_or_b32 exec_lo, exec_lo, s45
	v_add_nc_u32_e32 v6, 0x2b00, v0
                                        ; implicit-def: $vgpr119
	s_delay_alu instid0(VALU_DEP_1) | instskip(NEXT) | instid1(VALU_DEP_1)
	v_cmp_gt_i32_e64 s45, s70, v6
	s_and_saveexec_b32 s46, s45
	s_cbranch_execz .LBB7_87
; %bb.86:
	v_add_co_u32 v6, vcc_lo, 0x15000, v160
	v_add_co_ci_u32_e32 v7, vcc_lo, 0, v161, vcc_lo
	global_load_b64 v[118:119], v[6:7], off offset:2048
.LBB7_87:
	s_or_b32 exec_lo, exec_lo, s46
	v_or_b32_e32 v6, 0x2c00, v0
                                        ; implicit-def: $vgpr121
	s_delay_alu instid0(VALU_DEP_1)
	v_cmp_gt_i32_e64 s46, s70, v6
	v_ashrrev_i32_e32 v7, 31, v6
	scratch_store_b64 off, v[6:7], off offset:116 ; 8-byte Folded Spill
	s_and_saveexec_b32 s47, s46
	s_cbranch_execz .LBB7_89
; %bb.88:
	scratch_load_b64 v[6:7], off, off offset:116 ; 8-byte Folded Reload
	s_waitcnt vmcnt(0)
	v_lshlrev_b64 v[6:7], 3, v[6:7]
	s_delay_alu instid0(VALU_DEP_1) | instskip(NEXT) | instid1(VALU_DEP_2)
	v_add_co_u32 v6, vcc_lo, s64, v6
	v_add_co_ci_u32_e32 v7, vcc_lo, s65, v7, vcc_lo
	global_load_b64 v[120:121], v[6:7], off
.LBB7_89:
	s_or_b32 exec_lo, exec_lo, s47
	v_add_nc_u32_e32 v6, 0x2d00, v0
                                        ; implicit-def: $vgpr123
	s_delay_alu instid0(VALU_DEP_1) | instskip(NEXT) | instid1(VALU_DEP_1)
	v_cmp_gt_i32_e64 s47, s70, v6
	s_and_saveexec_b32 s48, s47
	s_cbranch_execz .LBB7_91
; %bb.90:
	v_add_co_u32 v6, vcc_lo, 0x16000, v160
	v_add_co_ci_u32_e32 v7, vcc_lo, 0, v161, vcc_lo
	global_load_b64 v[122:123], v[6:7], off offset:2048
.LBB7_91:
	s_or_b32 exec_lo, exec_lo, s48
	v_add_nc_u32_e32 v6, 0x2e00, v0
                                        ; implicit-def: $vgpr125
	s_delay_alu instid0(VALU_DEP_1) | instskip(NEXT) | instid1(VALU_DEP_1)
	v_cmp_gt_i32_e64 s48, s70, v6
	s_and_saveexec_b32 s49, s48
	s_cbranch_execz .LBB7_93
; %bb.92:
	v_add_co_u32 v6, vcc_lo, 0x17000, v160
	v_add_co_ci_u32_e32 v7, vcc_lo, 0, v161, vcc_lo
	global_load_b64 v[124:125], v[6:7], off
.LBB7_93:
	s_or_b32 exec_lo, exec_lo, s49
	v_add_nc_u32_e32 v6, 0x2f00, v0
                                        ; implicit-def: $vgpr127
	s_delay_alu instid0(VALU_DEP_1) | instskip(NEXT) | instid1(VALU_DEP_1)
	v_cmp_gt_i32_e64 s49, s70, v6
	s_and_saveexec_b32 s50, s49
	s_cbranch_execz .LBB7_95
; %bb.94:
	v_add_co_u32 v6, vcc_lo, 0x17000, v160
	v_add_co_ci_u32_e32 v7, vcc_lo, 0, v161, vcc_lo
	global_load_b64 v[126:127], v[6:7], off offset:2048
.LBB7_95:
	s_or_b32 exec_lo, exec_lo, s50
	v_or_b32_e32 v6, 0x3000, v0
                                        ; implicit-def: $vgpr129
	s_delay_alu instid0(VALU_DEP_1)
	v_cmp_gt_i32_e64 s50, s70, v6
	v_ashrrev_i32_e32 v7, 31, v6
	scratch_store_b64 off, v[6:7], off offset:124 ; 8-byte Folded Spill
	s_and_saveexec_b32 s51, s50
	s_cbranch_execz .LBB7_97
; %bb.96:
	scratch_load_b64 v[6:7], off, off offset:124 ; 8-byte Folded Reload
	s_waitcnt vmcnt(0)
	v_lshlrev_b64 v[6:7], 3, v[6:7]
	s_delay_alu instid0(VALU_DEP_1) | instskip(NEXT) | instid1(VALU_DEP_2)
	v_add_co_u32 v6, vcc_lo, s64, v6
	v_add_co_ci_u32_e32 v7, vcc_lo, s65, v7, vcc_lo
	global_load_b64 v[128:129], v[6:7], off
.LBB7_97:
	s_or_b32 exec_lo, exec_lo, s51
	v_add_nc_u32_e32 v6, 0x3100, v0
                                        ; implicit-def: $vgpr131
	s_delay_alu instid0(VALU_DEP_1) | instskip(NEXT) | instid1(VALU_DEP_1)
	v_cmp_gt_i32_e64 s51, s70, v6
	s_and_saveexec_b32 s52, s51
	s_cbranch_execz .LBB7_99
; %bb.98:
	v_add_co_u32 v6, vcc_lo, 0x18000, v160
	v_add_co_ci_u32_e32 v7, vcc_lo, 0, v161, vcc_lo
	global_load_b64 v[130:131], v[6:7], off offset:2048
.LBB7_99:
	s_or_b32 exec_lo, exec_lo, s52
	v_add_nc_u32_e32 v6, 0x3200, v0
                                        ; implicit-def: $vgpr133
	s_delay_alu instid0(VALU_DEP_1) | instskip(NEXT) | instid1(VALU_DEP_1)
	v_cmp_gt_i32_e64 s52, s70, v6
	s_and_saveexec_b32 s53, s52
	s_cbranch_execz .LBB7_101
; %bb.100:
	v_add_co_u32 v6, vcc_lo, 0x19000, v160
	v_add_co_ci_u32_e32 v7, vcc_lo, 0, v161, vcc_lo
	global_load_b64 v[132:133], v[6:7], off
.LBB7_101:
	s_or_b32 exec_lo, exec_lo, s53
	v_add_nc_u32_e32 v6, 0x3300, v0
                                        ; implicit-def: $vgpr135
	s_delay_alu instid0(VALU_DEP_1) | instskip(NEXT) | instid1(VALU_DEP_1)
	v_cmp_gt_i32_e64 s53, s70, v6
	s_and_saveexec_b32 s54, s53
	s_cbranch_execz .LBB7_103
; %bb.102:
	v_add_co_u32 v6, vcc_lo, 0x19000, v160
	v_add_co_ci_u32_e32 v7, vcc_lo, 0, v161, vcc_lo
	global_load_b64 v[134:135], v[6:7], off offset:2048
.LBB7_103:
	s_or_b32 exec_lo, exec_lo, s54
	v_or_b32_e32 v6, 0x3400, v0
                                        ; implicit-def: $vgpr137
	s_delay_alu instid0(VALU_DEP_1)
	v_cmp_gt_i32_e64 s54, s70, v6
	v_ashrrev_i32_e32 v7, 31, v6
	scratch_store_b64 off, v[6:7], off offset:132 ; 8-byte Folded Spill
	s_and_saveexec_b32 s55, s54
	s_cbranch_execz .LBB7_105
; %bb.104:
	scratch_load_b64 v[6:7], off, off offset:132 ; 8-byte Folded Reload
	s_waitcnt vmcnt(0)
	v_lshlrev_b64 v[6:7], 3, v[6:7]
	s_delay_alu instid0(VALU_DEP_1) | instskip(NEXT) | instid1(VALU_DEP_2)
	v_add_co_u32 v6, vcc_lo, s64, v6
	v_add_co_ci_u32_e32 v7, vcc_lo, s65, v7, vcc_lo
	global_load_b64 v[136:137], v[6:7], off
.LBB7_105:
	s_or_b32 exec_lo, exec_lo, s55
	v_add_nc_u32_e32 v6, 0x3500, v0
                                        ; implicit-def: $vgpr139
	s_delay_alu instid0(VALU_DEP_1) | instskip(NEXT) | instid1(VALU_DEP_1)
	v_cmp_gt_i32_e64 s55, s70, v6
	s_and_saveexec_b32 s56, s55
	s_cbranch_execz .LBB7_107
; %bb.106:
	v_add_co_u32 v6, vcc_lo, 0x1a000, v160
	v_add_co_ci_u32_e32 v7, vcc_lo, 0, v161, vcc_lo
	global_load_b64 v[138:139], v[6:7], off offset:2048
.LBB7_107:
	s_or_b32 exec_lo, exec_lo, s56
	v_add_nc_u32_e32 v6, 0x3600, v0
                                        ; implicit-def: $vgpr141
	s_delay_alu instid0(VALU_DEP_1) | instskip(NEXT) | instid1(VALU_DEP_1)
	v_cmp_gt_i32_e64 s56, s70, v6
	s_and_saveexec_b32 s57, s56
	s_cbranch_execz .LBB7_109
; %bb.108:
	v_add_co_u32 v6, vcc_lo, 0x1b000, v160
	v_add_co_ci_u32_e32 v7, vcc_lo, 0, v161, vcc_lo
	global_load_b64 v[140:141], v[6:7], off
.LBB7_109:
	s_or_b32 exec_lo, exec_lo, s57
	v_add_nc_u32_e32 v6, 0x3700, v0
                                        ; implicit-def: $vgpr143
	s_delay_alu instid0(VALU_DEP_1) | instskip(NEXT) | instid1(VALU_DEP_1)
	v_cmp_gt_i32_e64 s57, s70, v6
	s_and_saveexec_b32 s58, s57
	s_cbranch_execz .LBB7_111
; %bb.110:
	v_add_co_u32 v6, vcc_lo, 0x1b000, v160
	v_add_co_ci_u32_e32 v7, vcc_lo, 0, v161, vcc_lo
	global_load_b64 v[142:143], v[6:7], off offset:2048
.LBB7_111:
	s_or_b32 exec_lo, exec_lo, s58
	v_or_b32_e32 v6, 0x3800, v0
                                        ; implicit-def: $vgpr145
	s_delay_alu instid0(VALU_DEP_1)
	v_cmp_gt_i32_e64 s58, s70, v6
	v_ashrrev_i32_e32 v7, 31, v6
	scratch_store_b64 off, v[6:7], off offset:140 ; 8-byte Folded Spill
	s_and_saveexec_b32 s59, s58
	s_cbranch_execz .LBB7_113
; %bb.112:
	scratch_load_b64 v[6:7], off, off offset:140 ; 8-byte Folded Reload
	s_waitcnt vmcnt(0)
	v_lshlrev_b64 v[6:7], 3, v[6:7]
	s_delay_alu instid0(VALU_DEP_1) | instskip(NEXT) | instid1(VALU_DEP_2)
	v_add_co_u32 v6, vcc_lo, s64, v6
	v_add_co_ci_u32_e32 v7, vcc_lo, s65, v7, vcc_lo
	global_load_b64 v[144:145], v[6:7], off
.LBB7_113:
	s_or_b32 exec_lo, exec_lo, s59
	v_add_nc_u32_e32 v6, 0x3900, v0
                                        ; implicit-def: $vgpr147
	s_delay_alu instid0(VALU_DEP_1) | instskip(NEXT) | instid1(VALU_DEP_1)
	v_cmp_gt_i32_e64 s59, s70, v6
	s_and_saveexec_b32 s60, s59
	s_cbranch_execz .LBB7_115
; %bb.114:
	v_add_co_u32 v6, vcc_lo, 0x1c000, v160
	v_add_co_ci_u32_e32 v7, vcc_lo, 0, v161, vcc_lo
	global_load_b64 v[146:147], v[6:7], off offset:2048
.LBB7_115:
	s_or_b32 exec_lo, exec_lo, s60
	v_add_nc_u32_e32 v6, 0x3a00, v0
                                        ; implicit-def: $vgpr149
	s_delay_alu instid0(VALU_DEP_1) | instskip(NEXT) | instid1(VALU_DEP_1)
	v_cmp_gt_i32_e64 s60, s70, v6
	s_and_saveexec_b32 s61, s60
	s_cbranch_execz .LBB7_117
; %bb.116:
	v_add_co_u32 v6, vcc_lo, 0x1d000, v160
	v_add_co_ci_u32_e32 v7, vcc_lo, 0, v161, vcc_lo
	global_load_b64 v[148:149], v[6:7], off
.LBB7_117:
	s_or_b32 exec_lo, exec_lo, s61
	v_add_nc_u32_e32 v6, 0x3b00, v0
                                        ; implicit-def: $vgpr151
	s_delay_alu instid0(VALU_DEP_1) | instskip(NEXT) | instid1(VALU_DEP_1)
	v_cmp_gt_i32_e64 s61, s70, v6
	s_and_saveexec_b32 s62, s61
	s_cbranch_execz .LBB7_119
; %bb.118:
	v_add_co_u32 v6, vcc_lo, 0x1d000, v160
	v_add_co_ci_u32_e32 v7, vcc_lo, 0, v161, vcc_lo
	global_load_b64 v[150:151], v[6:7], off offset:2048
.LBB7_119:
	s_or_b32 exec_lo, exec_lo, s62
	v_or_b32_e32 v6, 0x3c00, v0
                                        ; implicit-def: $vgpr153
	s_delay_alu instid0(VALU_DEP_1)
	v_cmp_gt_i32_e64 s62, s70, v6
	v_ashrrev_i32_e32 v7, 31, v6
	scratch_store_b64 off, v[6:7], off offset:148 ; 8-byte Folded Spill
	s_and_saveexec_b32 s63, s62
	s_cbranch_execz .LBB7_121
; %bb.120:
	scratch_load_b64 v[6:7], off, off offset:148 ; 8-byte Folded Reload
	s_waitcnt vmcnt(0)
	v_lshlrev_b64 v[6:7], 3, v[6:7]
	s_delay_alu instid0(VALU_DEP_1) | instskip(NEXT) | instid1(VALU_DEP_2)
	v_add_co_u32 v6, vcc_lo, s64, v6
	v_add_co_ci_u32_e32 v7, vcc_lo, s65, v7, vcc_lo
	global_load_b64 v[152:153], v[6:7], off
.LBB7_121:
	s_or_b32 exec_lo, exec_lo, s63
	v_add_nc_u32_e32 v6, 0x3d00, v0
                                        ; implicit-def: $vgpr155
	s_delay_alu instid0(VALU_DEP_1) | instskip(NEXT) | instid1(VALU_DEP_1)
	v_cmp_gt_i32_e64 s63, s70, v6
	s_and_saveexec_b32 s64, s63
	s_cbranch_execz .LBB7_123
; %bb.122:
	v_add_co_u32 v6, vcc_lo, 0x1e000, v160
	v_add_co_ci_u32_e32 v7, vcc_lo, 0, v161, vcc_lo
	global_load_b64 v[154:155], v[6:7], off offset:2048
.LBB7_123:
	s_or_b32 exec_lo, exec_lo, s64
	s_load_b64 s[68:69], s[0:1], 0x10
	v_add_nc_u32_e32 v6, 0x3e00, v0
                                        ; implicit-def: $vgpr157
	s_delay_alu instid0(VALU_DEP_1) | instskip(NEXT) | instid1(VALU_DEP_1)
	v_cmp_gt_i32_e64 s64, s70, v6
	s_and_saveexec_b32 s65, s64
	s_cbranch_execz .LBB7_125
; %bb.124:
	v_add_co_u32 v6, vcc_lo, 0x1f000, v160
	v_add_co_ci_u32_e32 v7, vcc_lo, 0, v161, vcc_lo
	global_load_b64 v[156:157], v[6:7], off
.LBB7_125:
	s_or_b32 exec_lo, exec_lo, s65
	s_load_b64 s[66:67], s[0:1], 0x0
	v_add_nc_u32_e32 v6, 0x3f00, v0
                                        ; implicit-def: $vgpr159
	s_delay_alu instid0(VALU_DEP_1) | instskip(NEXT) | instid1(VALU_DEP_1)
	v_cmp_gt_i32_e64 s0, s70, v6
	s_and_saveexec_b32 s1, s0
	s_cbranch_execz .LBB7_127
; %bb.126:
	v_add_co_u32 v6, vcc_lo, 0x1f000, v160
	v_add_co_ci_u32_e32 v7, vcc_lo, 0, v161, vcc_lo
	global_load_b64 v[158:159], v[6:7], off offset:2048
.LBB7_127:
	s_or_b32 exec_lo, exec_lo, s1
	v_dual_mov_b32 v6, 0 :: v_dual_mov_b32 v169, 0
	s_waitcnt lgkmcnt(0)
	s_load_b64 s[70:71], s[68:69], 0x12b8
	v_dual_mov_b32 v170, 0 :: v_dual_mov_b32 v187, 0
	scratch_store_b32 off, v6, off          ; 4-byte Folded Spill
	v_dual_mov_b32 v6, 0 :: v_dual_mov_b32 v171, 0
	v_dual_mov_b32 v172, 0 :: v_dual_mov_b32 v189, 0
	v_mov_b32_e32 v173, 0
	scratch_store_b32 off, v6, off offset:4 ; 4-byte Folded Spill
	v_mov_b32_e32 v6, 0
	v_dual_mov_b32 v174, 0 :: v_dual_mov_b32 v191, 0
	v_dual_mov_b32 v175, 0 :: v_dual_mov_b32 v176, 0
	v_mov_b32_e32 v7, 0
	scratch_store_b32 off, v6, off offset:8 ; 4-byte Folded Spill
	v_dual_mov_b32 v6, 0 :: v_dual_mov_b32 v177, 0
	v_dual_mov_b32 v178, 0 :: v_dual_mov_b32 v13, 0
	;; [unrolled: 1-line block ×3, first 2 shown]
	scratch_store_b32 off, v6, off offset:12 ; 4-byte Folded Spill
	v_dual_mov_b32 v6, 0 :: v_dual_mov_b32 v179, 0
	v_dual_mov_b32 v182, 0 :: v_dual_mov_b32 v25, 0
	v_mov_b32_e32 v181, 0
	scratch_store_b32 off, v6, off offset:16 ; 4-byte Folded Spill
	v_mov_b32_e32 v6, 0
	v_dual_mov_b32 v184, 0 :: v_dual_mov_b32 v29, 0
	v_dual_mov_b32 v183, 0 :: v_dual_mov_b32 v186, 0
	v_mov_b32_e32 v35, 0
	scratch_store_b32 off, v6, off offset:20 ; 4-byte Folded Spill
	v_dual_mov_b32 v6, 0 :: v_dual_mov_b32 v185, 0
	v_dual_mov_b32 v188, 0 :: v_dual_mov_b32 v41, 0
	;; [unrolled: 1-line block ×3, first 2 shown]
	scratch_store_b32 off, v6, off offset:24 ; 4-byte Folded Spill
	v_mov_b32_e32 v6, 0
	v_dual_mov_b32 v12, 0 :: v_dual_mov_b32 v57, 0
	v_dual_mov_b32 v18, 0 :: v_dual_mov_b32 v61, 0
	scratch_store_b32 off, v6, off offset:28 ; 4-byte Folded Spill
	v_mov_b32_e32 v6, 0
	v_dual_mov_b32 v24, 0 :: v_dual_mov_b32 v67, 0
	v_dual_mov_b32 v28, 0 :: v_dual_mov_b32 v73, 0
	scratch_store_b32 off, v6, off offset:32 ; 4-byte Folded Spill
	v_dual_mov_b32 v6, 0 :: v_dual_mov_b32 v51, 0
	v_dual_mov_b32 v34, 0 :: v_dual_mov_b32 v77, 0
	;; [unrolled: 1-line block ×4, first 2 shown]
	v_mov_b32_e32 v50, 0
	v_mov_b32_e32 v56, 0
	;; [unrolled: 1-line block ×8, first 2 shown]
	s_mov_b64 s[72:73], 0
	s_waitcnt lgkmcnt(0)
	s_mov_b32 s74, s70
.LBB7_128:                              ; =>This Inner Loop Header: Depth=1
	s_add_u32 s76, s68, s72
	s_addc_u32 s77, s69, s73
	s_mov_b32 s1, s74
	s_load_b64 s[74:75], s[76:77], 0x0
	s_waitcnt lgkmcnt(0)
	v_sub_f32_e64 v162, s1, s74
	v_sub_f32_e64 v163, s71, s75
	s_waitcnt vmcnt(0)
	v_cmp_ngt_f32_e64 s1, s71, v3
	s_delay_alu instid0(VALU_DEP_2) | instskip(SKIP_1) | instid1(VALU_DEP_2)
	v_div_scale_f32 v164, null, v163, v163, v162
	v_div_scale_f32 v167, vcc_lo, v162, v163, v162
	v_rcp_f32_e32 v165, v164
	s_waitcnt_depctr 0xfff
	v_fma_f32 v166, -v164, v165, 1.0
	s_delay_alu instid0(VALU_DEP_1) | instskip(NEXT) | instid1(VALU_DEP_1)
	v_fmac_f32_e32 v165, v166, v165
	v_mul_f32_e32 v166, v167, v165
	s_delay_alu instid0(VALU_DEP_1) | instskip(NEXT) | instid1(VALU_DEP_1)
	v_fma_f32 v168, -v164, v166, v167
	v_fmac_f32_e32 v166, v168, v165
	s_delay_alu instid0(VALU_DEP_1) | instskip(NEXT) | instid1(VALU_DEP_1)
	v_fma_f32 v164, -v164, v166, v167
	v_div_fmas_f32 v164, v164, v165, v166
	v_cmp_gt_f32_e32 vcc_lo, s75, v3
	s_delay_alu instid0(VALU_DEP_2) | instskip(SKIP_1) | instid1(SALU_CYCLE_1)
	v_div_fixup_f32 v162, v164, v163, v162
	s_xor_b32 s1, vcc_lo, s1
	s_xor_b32 s65, s1, -1
	s_delay_alu instid0(SALU_CYCLE_1)
	s_and_saveexec_b32 s1, s65
	s_cbranch_execz .LBB7_132
; %bb.129:                              ;   in Loop: Header=BB7_128 Depth=1
	v_subrev_f32_e32 v163, s75, v3
	s_mov_b32 s65, exec_lo
	s_delay_alu instid0(VALU_DEP_1) | instskip(NEXT) | instid1(VALU_DEP_1)
	v_fma_f32 v163, v162, v163, s74
	v_cmpx_lt_f32_e32 v2, v163
; %bb.130:                              ;   in Loop: Header=BB7_128 Depth=1
	v_cmp_eq_u32_e32 vcc_lo, 0, v161
	v_cndmask_b32_e64 v161, 0, 1, vcc_lo
; %bb.131:                              ;   in Loop: Header=BB7_128 Depth=1
	s_or_b32 exec_lo, exec_lo, s65
.LBB7_132:                              ;   in Loop: Header=BB7_128 Depth=1
	s_delay_alu instid0(SALU_CYCLE_1) | instskip(SKIP_2) | instid1(VALU_DEP_1)
	s_or_b32 exec_lo, exec_lo, s1
	v_cmp_gt_f32_e32 vcc_lo, s75, v5
	v_cmp_ngt_f32_e64 s1, s71, v5
	s_xor_b32 s1, vcc_lo, s1
	s_delay_alu instid0(SALU_CYCLE_1) | instskip(NEXT) | instid1(SALU_CYCLE_1)
	s_xor_b32 s65, s1, -1
	s_and_saveexec_b32 s1, s65
	s_cbranch_execz .LBB7_136
; %bb.133:                              ;   in Loop: Header=BB7_128 Depth=1
	v_subrev_f32_e32 v163, s75, v5
	s_mov_b32 s65, exec_lo
	s_delay_alu instid0(VALU_DEP_1) | instskip(NEXT) | instid1(VALU_DEP_1)
	v_fma_f32 v163, v162, v163, s74
	v_cmpx_lt_f32_e32 v4, v163
; %bb.134:                              ;   in Loop: Header=BB7_128 Depth=1
	v_cmp_eq_u32_e32 vcc_lo, 0, v160
	v_cndmask_b32_e64 v160, 0, 1, vcc_lo
; %bb.135:                              ;   in Loop: Header=BB7_128 Depth=1
	s_or_b32 exec_lo, exec_lo, s65
.LBB7_136:                              ;   in Loop: Header=BB7_128 Depth=1
	s_delay_alu instid0(SALU_CYCLE_1) | instskip(SKIP_2) | instid1(VALU_DEP_1)
	s_or_b32 exec_lo, exec_lo, s1
	v_cmp_gt_f32_e32 vcc_lo, s75, v9
	v_cmp_ngt_f32_e64 s1, s71, v9
	s_xor_b32 s1, vcc_lo, s1
	s_delay_alu instid0(SALU_CYCLE_1) | instskip(NEXT) | instid1(SALU_CYCLE_1)
	s_xor_b32 s65, s1, -1
	;; [unrolled: 21-line block ×55, first 2 shown]
	s_and_saveexec_b32 s1, s65
	s_cbranch_execz .LBB7_352
; %bb.349:                              ;   in Loop: Header=BB7_128 Depth=1
	v_subrev_f32_e32 v163, s75, v143
	s_mov_b32 s65, exec_lo
	s_delay_alu instid0(VALU_DEP_1) | instskip(NEXT) | instid1(VALU_DEP_1)
	v_fma_f32 v163, v162, v163, s74
	v_cmpx_lt_f32_e32 v142, v163
	s_cbranch_execz .LBB7_351
; %bb.350:                              ;   in Loop: Header=BB7_128 Depth=1
	scratch_load_b32 v163, off, off offset:32 ; 4-byte Folded Reload
	s_waitcnt vmcnt(0)
	v_cmp_eq_u32_e32 vcc_lo, 0, v163
	v_cndmask_b32_e64 v163, 0, 1, vcc_lo
	scratch_store_b32 off, v163, off offset:32 ; 4-byte Folded Spill
.LBB7_351:                              ;   in Loop: Header=BB7_128 Depth=1
	s_or_b32 exec_lo, exec_lo, s65
.LBB7_352:                              ;   in Loop: Header=BB7_128 Depth=1
	s_delay_alu instid0(SALU_CYCLE_1) | instskip(SKIP_2) | instid1(VALU_DEP_1)
	s_or_b32 exec_lo, exec_lo, s1
	v_cmp_gt_f32_e32 vcc_lo, s75, v145
	v_cmp_ngt_f32_e64 s1, s71, v145
	s_xor_b32 s1, vcc_lo, s1
	s_delay_alu instid0(SALU_CYCLE_1) | instskip(NEXT) | instid1(SALU_CYCLE_1)
	s_xor_b32 s65, s1, -1
	s_and_saveexec_b32 s1, s65
	s_cbranch_execz .LBB7_356
; %bb.353:                              ;   in Loop: Header=BB7_128 Depth=1
	v_subrev_f32_e32 v163, s75, v145
	s_mov_b32 s65, exec_lo
	s_delay_alu instid0(VALU_DEP_1) | instskip(NEXT) | instid1(VALU_DEP_1)
	v_fma_f32 v163, v162, v163, s74
	v_cmpx_lt_f32_e32 v144, v163
	s_cbranch_execz .LBB7_355
; %bb.354:                              ;   in Loop: Header=BB7_128 Depth=1
	scratch_load_b32 v163, off, off offset:28 ; 4-byte Folded Reload
	s_waitcnt vmcnt(0)
	v_cmp_eq_u32_e32 vcc_lo, 0, v163
	v_cndmask_b32_e64 v163, 0, 1, vcc_lo
	scratch_store_b32 off, v163, off offset:28 ; 4-byte Folded Spill
.LBB7_355:                              ;   in Loop: Header=BB7_128 Depth=1
	s_or_b32 exec_lo, exec_lo, s65
.LBB7_356:                              ;   in Loop: Header=BB7_128 Depth=1
	s_delay_alu instid0(SALU_CYCLE_1) | instskip(SKIP_2) | instid1(VALU_DEP_1)
	s_or_b32 exec_lo, exec_lo, s1
	v_cmp_gt_f32_e32 vcc_lo, s75, v147
	v_cmp_ngt_f32_e64 s1, s71, v147
	s_xor_b32 s1, vcc_lo, s1
	s_delay_alu instid0(SALU_CYCLE_1) | instskip(NEXT) | instid1(SALU_CYCLE_1)
	s_xor_b32 s65, s1, -1
	;; [unrolled: 25-line block ×8, first 2 shown]
	s_and_saveexec_b32 s1, s65
	s_cbranch_execz .LBB7_384
; %bb.381:                              ;   in Loop: Header=BB7_128 Depth=1
	v_subrev_f32_e32 v163, s75, v159
	s_mov_b32 s65, exec_lo
	s_delay_alu instid0(VALU_DEP_1) | instskip(NEXT) | instid1(VALU_DEP_1)
	v_fma_f32 v162, v162, v163, s74
	v_cmpx_lt_f32_e32 v158, v162
	s_cbranch_execz .LBB7_383
; %bb.382:                              ;   in Loop: Header=BB7_128 Depth=1
	scratch_load_b32 v162, off, off         ; 4-byte Folded Reload
	s_waitcnt vmcnt(0)
	v_cmp_eq_u32_e32 vcc_lo, 0, v162
	v_cndmask_b32_e64 v162, 0, 1, vcc_lo
	scratch_store_b32 off, v162, off        ; 4-byte Folded Spill
.LBB7_383:                              ;   in Loop: Header=BB7_128 Depth=1
	s_or_b32 exec_lo, exec_lo, s65
.LBB7_384:                              ;   in Loop: Header=BB7_128 Depth=1
	s_delay_alu instid0(SALU_CYCLE_1)
	s_or_b32 exec_lo, exec_lo, s1
	s_add_u32 s72, s72, 8
	s_addc_u32 s73, s73, 0
	s_cmpk_lg_i32 s72, 0x12c0
	s_cbranch_scc0 .LBB7_386
; %bb.385:                              ;   in Loop: Header=BB7_128 Depth=1
	s_mov_b32 s71, s75
	s_branch .LBB7_128
.LBB7_386:
	v_lshlrev_b64 v[0:1], 2, v[0:1]
	s_delay_alu instid0(VALU_DEP_1) | instskip(NEXT) | instid1(VALU_DEP_2)
	v_add_co_u32 v0, vcc_lo, s66, v0
	v_add_co_ci_u32_e32 v1, vcc_lo, s67, v1, vcc_lo
	global_store_b32 v[0:1], v161, off
	s_and_saveexec_b32 s1, s2
	s_cbranch_execnz .LBB7_451
; %bb.387:
	s_or_b32 exec_lo, exec_lo, s1
	s_and_saveexec_b32 s1, s3
	s_cbranch_execnz .LBB7_452
.LBB7_388:
	s_or_b32 exec_lo, exec_lo, s1
	s_and_saveexec_b32 s1, s4
	s_cbranch_execnz .LBB7_453
.LBB7_389:
	s_or_b32 exec_lo, exec_lo, s1
	s_and_saveexec_b32 s1, s5
	s_cbranch_execnz .LBB7_454
.LBB7_390:
	s_or_b32 exec_lo, exec_lo, s1
	s_and_saveexec_b32 s1, s6
	s_cbranch_execnz .LBB7_455
.LBB7_391:
	s_or_b32 exec_lo, exec_lo, s1
	s_and_saveexec_b32 s1, s7
	s_cbranch_execnz .LBB7_456
.LBB7_392:
	s_or_b32 exec_lo, exec_lo, s1
	s_and_saveexec_b32 s1, s8
	s_cbranch_execnz .LBB7_457
.LBB7_393:
	s_or_b32 exec_lo, exec_lo, s1
	s_and_saveexec_b32 s1, s9
	s_cbranch_execnz .LBB7_458
.LBB7_394:
	s_or_b32 exec_lo, exec_lo, s1
	s_and_saveexec_b32 s1, s10
	s_cbranch_execnz .LBB7_459
.LBB7_395:
	s_or_b32 exec_lo, exec_lo, s1
	s_and_saveexec_b32 s1, s11
	s_cbranch_execnz .LBB7_460
.LBB7_396:
	s_or_b32 exec_lo, exec_lo, s1
	s_and_saveexec_b32 s1, s12
	s_cbranch_execnz .LBB7_461
.LBB7_397:
	s_or_b32 exec_lo, exec_lo, s1
	s_and_saveexec_b32 s1, s13
	s_cbranch_execnz .LBB7_462
.LBB7_398:
	s_or_b32 exec_lo, exec_lo, s1
	s_and_saveexec_b32 s1, s14
	s_cbranch_execnz .LBB7_463
.LBB7_399:
	s_or_b32 exec_lo, exec_lo, s1
	s_and_saveexec_b32 s1, s15
	s_cbranch_execnz .LBB7_464
.LBB7_400:
	s_or_b32 exec_lo, exec_lo, s1
	s_and_saveexec_b32 s1, s16
	s_cbranch_execnz .LBB7_465
.LBB7_401:
	s_or_b32 exec_lo, exec_lo, s1
	s_and_saveexec_b32 s1, s17
	s_cbranch_execnz .LBB7_466
.LBB7_402:
	s_or_b32 exec_lo, exec_lo, s1
	s_and_saveexec_b32 s1, s18
	s_cbranch_execnz .LBB7_467
.LBB7_403:
	s_or_b32 exec_lo, exec_lo, s1
	s_and_saveexec_b32 s1, s19
	s_cbranch_execnz .LBB7_468
.LBB7_404:
	s_or_b32 exec_lo, exec_lo, s1
	s_and_saveexec_b32 s1, s20
	s_cbranch_execnz .LBB7_469
.LBB7_405:
	s_or_b32 exec_lo, exec_lo, s1
	s_and_saveexec_b32 s1, s21
	s_cbranch_execnz .LBB7_470
.LBB7_406:
	s_or_b32 exec_lo, exec_lo, s1
	s_and_saveexec_b32 s1, s22
	s_cbranch_execnz .LBB7_471
.LBB7_407:
	s_or_b32 exec_lo, exec_lo, s1
	s_and_saveexec_b32 s1, s23
	s_cbranch_execnz .LBB7_472
.LBB7_408:
	s_or_b32 exec_lo, exec_lo, s1
	s_and_saveexec_b32 s1, s24
	s_cbranch_execnz .LBB7_473
.LBB7_409:
	s_or_b32 exec_lo, exec_lo, s1
	s_and_saveexec_b32 s1, s25
	s_cbranch_execnz .LBB7_474
.LBB7_410:
	s_or_b32 exec_lo, exec_lo, s1
	s_and_saveexec_b32 s1, s26
	s_cbranch_execnz .LBB7_475
.LBB7_411:
	s_or_b32 exec_lo, exec_lo, s1
	s_and_saveexec_b32 s1, s27
	s_cbranch_execnz .LBB7_476
.LBB7_412:
	s_or_b32 exec_lo, exec_lo, s1
	s_and_saveexec_b32 s1, s28
	s_cbranch_execnz .LBB7_477
.LBB7_413:
	s_or_b32 exec_lo, exec_lo, s1
	s_and_saveexec_b32 s1, s29
	s_cbranch_execnz .LBB7_478
.LBB7_414:
	s_or_b32 exec_lo, exec_lo, s1
	s_and_saveexec_b32 s1, s30
	s_cbranch_execnz .LBB7_479
.LBB7_415:
	s_or_b32 exec_lo, exec_lo, s1
	s_and_saveexec_b32 s1, s31
	s_cbranch_execnz .LBB7_480
.LBB7_416:
	s_or_b32 exec_lo, exec_lo, s1
	s_and_saveexec_b32 s1, s33
	s_cbranch_execnz .LBB7_481
.LBB7_417:
	s_or_b32 exec_lo, exec_lo, s1
	s_and_saveexec_b32 s1, s34
	s_cbranch_execnz .LBB7_482
.LBB7_418:
	s_or_b32 exec_lo, exec_lo, s1
	s_and_saveexec_b32 s1, s35
	s_cbranch_execnz .LBB7_483
.LBB7_419:
	s_or_b32 exec_lo, exec_lo, s1
	s_and_saveexec_b32 s1, s36
	s_cbranch_execnz .LBB7_484
.LBB7_420:
	s_or_b32 exec_lo, exec_lo, s1
	s_and_saveexec_b32 s1, s37
	s_cbranch_execnz .LBB7_485
.LBB7_421:
	s_or_b32 exec_lo, exec_lo, s1
	s_and_saveexec_b32 s1, s38
	s_cbranch_execnz .LBB7_486
.LBB7_422:
	s_or_b32 exec_lo, exec_lo, s1
	s_and_saveexec_b32 s1, s39
	s_cbranch_execnz .LBB7_487
.LBB7_423:
	s_or_b32 exec_lo, exec_lo, s1
	s_and_saveexec_b32 s1, s40
	s_cbranch_execnz .LBB7_488
.LBB7_424:
	s_or_b32 exec_lo, exec_lo, s1
	s_and_saveexec_b32 s1, s41
	s_cbranch_execnz .LBB7_489
.LBB7_425:
	s_or_b32 exec_lo, exec_lo, s1
	s_and_saveexec_b32 s1, s42
	s_cbranch_execnz .LBB7_490
.LBB7_426:
	s_or_b32 exec_lo, exec_lo, s1
	s_and_saveexec_b32 s1, s43
	s_cbranch_execnz .LBB7_491
.LBB7_427:
	s_or_b32 exec_lo, exec_lo, s1
	s_and_saveexec_b32 s1, s44
	s_cbranch_execnz .LBB7_492
.LBB7_428:
	s_or_b32 exec_lo, exec_lo, s1
	s_and_saveexec_b32 s1, s45
	s_cbranch_execnz .LBB7_493
.LBB7_429:
	s_or_b32 exec_lo, exec_lo, s1
	s_and_saveexec_b32 s1, s46
	s_cbranch_execnz .LBB7_494
.LBB7_430:
	s_or_b32 exec_lo, exec_lo, s1
	s_and_saveexec_b32 s1, s47
	s_cbranch_execnz .LBB7_495
.LBB7_431:
	s_or_b32 exec_lo, exec_lo, s1
	s_and_saveexec_b32 s1, s48
	s_cbranch_execnz .LBB7_496
.LBB7_432:
	s_or_b32 exec_lo, exec_lo, s1
	s_and_saveexec_b32 s1, s49
	s_cbranch_execnz .LBB7_497
.LBB7_433:
	s_or_b32 exec_lo, exec_lo, s1
	s_and_saveexec_b32 s1, s50
	s_cbranch_execnz .LBB7_498
.LBB7_434:
	s_or_b32 exec_lo, exec_lo, s1
	s_and_saveexec_b32 s1, s51
	s_cbranch_execnz .LBB7_499
.LBB7_435:
	s_or_b32 exec_lo, exec_lo, s1
	s_and_saveexec_b32 s1, s52
	s_cbranch_execnz .LBB7_500
.LBB7_436:
	s_or_b32 exec_lo, exec_lo, s1
	s_and_saveexec_b32 s1, s53
	s_cbranch_execnz .LBB7_501
.LBB7_437:
	s_or_b32 exec_lo, exec_lo, s1
	s_and_saveexec_b32 s1, s54
	s_cbranch_execnz .LBB7_502
.LBB7_438:
	s_or_b32 exec_lo, exec_lo, s1
	s_and_saveexec_b32 s1, s55
	s_cbranch_execnz .LBB7_503
.LBB7_439:
	s_or_b32 exec_lo, exec_lo, s1
	s_and_saveexec_b32 s1, s56
	s_cbranch_execnz .LBB7_504
.LBB7_440:
	s_or_b32 exec_lo, exec_lo, s1
	s_and_saveexec_b32 s1, s57
	s_cbranch_execnz .LBB7_505
.LBB7_441:
	s_or_b32 exec_lo, exec_lo, s1
	s_and_saveexec_b32 s1, s58
	s_cbranch_execnz .LBB7_506
.LBB7_442:
	s_or_b32 exec_lo, exec_lo, s1
	s_and_saveexec_b32 s1, s59
	s_cbranch_execnz .LBB7_507
.LBB7_443:
	s_or_b32 exec_lo, exec_lo, s1
	s_and_saveexec_b32 s1, s60
	s_cbranch_execnz .LBB7_508
.LBB7_444:
	s_or_b32 exec_lo, exec_lo, s1
	s_and_saveexec_b32 s1, s61
	s_cbranch_execnz .LBB7_509
.LBB7_445:
	s_or_b32 exec_lo, exec_lo, s1
	s_and_saveexec_b32 s1, s62
	s_cbranch_execnz .LBB7_510
.LBB7_446:
	s_or_b32 exec_lo, exec_lo, s1
	s_and_saveexec_b32 s1, s63
	s_cbranch_execnz .LBB7_511
.LBB7_447:
	s_or_b32 exec_lo, exec_lo, s1
	s_and_saveexec_b32 s1, s64
	s_cbranch_execnz .LBB7_512
.LBB7_448:
	s_or_b32 exec_lo, exec_lo, s1
	s_delay_alu instid0(SALU_CYCLE_1)
	s_and_b32 exec_lo, exec_lo, s0
	s_cbranch_execz .LBB7_450
.LBB7_449:
	scratch_load_b32 v2, off, off           ; 4-byte Folded Reload
	v_add_co_u32 v0, vcc_lo, 0xf000, v0
	v_add_co_ci_u32_e32 v1, vcc_lo, 0, v1, vcc_lo
	s_waitcnt vmcnt(0)
	global_store_b32 v[0:1], v2, off offset:3072
.LBB7_450:
	s_endpgm
.LBB7_451:
	global_store_b32 v[0:1], v160, off offset:1024
	s_or_b32 exec_lo, exec_lo, s1
	s_and_saveexec_b32 s1, s3
	s_cbranch_execz .LBB7_388
.LBB7_452:
	global_store_b32 v[0:1], v83, off offset:2048
	s_or_b32 exec_lo, exec_lo, s1
	s_and_saveexec_b32 s1, s4
	s_cbranch_execz .LBB7_389
.LBB7_453:
	global_store_b32 v[0:1], v82, off offset:3072
	s_or_b32 exec_lo, exec_lo, s1
	s_and_saveexec_b32 s1, s5
	s_cbranch_execz .LBB7_390
.LBB7_454:
	scratch_load_b64 v[2:3], off, off offset:36 ; 8-byte Folded Reload
	s_waitcnt vmcnt(0)
	v_lshlrev_b64 v[2:3], 2, v[2:3]
	s_delay_alu instid0(VALU_DEP_1) | instskip(NEXT) | instid1(VALU_DEP_2)
	v_add_co_u32 v2, vcc_lo, s66, v2
	v_add_co_ci_u32_e32 v3, vcc_lo, s67, v3, vcc_lo
	global_store_b32 v[2:3], v77, off
	s_or_b32 exec_lo, exec_lo, s1
	s_and_saveexec_b32 s1, s6
	s_cbranch_execz .LBB7_391
.LBB7_455:
	v_add_co_u32 v2, vcc_lo, 0x1000, v0
	v_add_co_ci_u32_e32 v3, vcc_lo, 0, v1, vcc_lo
	global_store_b32 v[2:3], v76, off offset:1024
	s_or_b32 exec_lo, exec_lo, s1
	s_and_saveexec_b32 s1, s7
	s_cbranch_execz .LBB7_392
.LBB7_456:
	v_add_co_u32 v2, vcc_lo, 0x1000, v0
	v_add_co_ci_u32_e32 v3, vcc_lo, 0, v1, vcc_lo
	global_store_b32 v[2:3], v73, off offset:2048
	s_or_b32 exec_lo, exec_lo, s1
	s_and_saveexec_b32 s1, s8
	s_cbranch_execz .LBB7_393
.LBB7_457:
	v_add_co_u32 v2, vcc_lo, 0x1000, v0
	v_add_co_ci_u32_e32 v3, vcc_lo, 0, v1, vcc_lo
	global_store_b32 v[2:3], v72, off offset:3072
	s_or_b32 exec_lo, exec_lo, s1
	s_and_saveexec_b32 s1, s9
	s_cbranch_execz .LBB7_394
.LBB7_458:
	scratch_load_b64 v[2:3], off, off offset:44 ; 8-byte Folded Reload
	s_waitcnt vmcnt(0)
	v_lshlrev_b64 v[2:3], 2, v[2:3]
	s_delay_alu instid0(VALU_DEP_1) | instskip(NEXT) | instid1(VALU_DEP_2)
	v_add_co_u32 v2, vcc_lo, s66, v2
	v_add_co_ci_u32_e32 v3, vcc_lo, s67, v3, vcc_lo
	global_store_b32 v[2:3], v67, off
	s_or_b32 exec_lo, exec_lo, s1
	s_and_saveexec_b32 s1, s10
	s_cbranch_execz .LBB7_395
.LBB7_459:
	v_add_co_u32 v2, vcc_lo, 0x2000, v0
	v_add_co_ci_u32_e32 v3, vcc_lo, 0, v1, vcc_lo
	global_store_b32 v[2:3], v66, off offset:1024
	s_or_b32 exec_lo, exec_lo, s1
	s_and_saveexec_b32 s1, s11
	s_cbranch_execz .LBB7_396
.LBB7_460:
	v_add_co_u32 v2, vcc_lo, 0x2000, v0
	v_add_co_ci_u32_e32 v3, vcc_lo, 0, v1, vcc_lo
	global_store_b32 v[2:3], v61, off offset:2048
	s_or_b32 exec_lo, exec_lo, s1
	s_and_saveexec_b32 s1, s12
	s_cbranch_execz .LBB7_397
.LBB7_461:
	v_add_co_u32 v2, vcc_lo, 0x2000, v0
	v_add_co_ci_u32_e32 v3, vcc_lo, 0, v1, vcc_lo
	global_store_b32 v[2:3], v60, off offset:3072
	s_or_b32 exec_lo, exec_lo, s1
	s_and_saveexec_b32 s1, s13
	s_cbranch_execz .LBB7_398
.LBB7_462:
	scratch_load_b64 v[2:3], off, off offset:52 ; 8-byte Folded Reload
	s_waitcnt vmcnt(0)
	v_lshlrev_b64 v[2:3], 2, v[2:3]
	s_delay_alu instid0(VALU_DEP_1) | instskip(NEXT) | instid1(VALU_DEP_2)
	v_add_co_u32 v2, vcc_lo, s66, v2
	v_add_co_ci_u32_e32 v3, vcc_lo, s67, v3, vcc_lo
	global_store_b32 v[2:3], v57, off
	s_or_b32 exec_lo, exec_lo, s1
	s_and_saveexec_b32 s1, s14
	s_cbranch_execz .LBB7_399
.LBB7_463:
	v_add_co_u32 v2, vcc_lo, 0x3000, v0
	v_add_co_ci_u32_e32 v3, vcc_lo, 0, v1, vcc_lo
	global_store_b32 v[2:3], v56, off offset:1024
	s_or_b32 exec_lo, exec_lo, s1
	s_and_saveexec_b32 s1, s15
	s_cbranch_execz .LBB7_400
.LBB7_464:
	v_add_co_u32 v2, vcc_lo, 0x3000, v0
	v_add_co_ci_u32_e32 v3, vcc_lo, 0, v1, vcc_lo
	global_store_b32 v[2:3], v51, off offset:2048
	s_or_b32 exec_lo, exec_lo, s1
	s_and_saveexec_b32 s1, s16
	s_cbranch_execz .LBB7_401
.LBB7_465:
	v_add_co_u32 v2, vcc_lo, 0x3000, v0
	v_add_co_ci_u32_e32 v3, vcc_lo, 0, v1, vcc_lo
	global_store_b32 v[2:3], v50, off offset:3072
	s_or_b32 exec_lo, exec_lo, s1
	s_and_saveexec_b32 s1, s17
	s_cbranch_execz .LBB7_402
.LBB7_466:
	scratch_load_b64 v[2:3], off, off offset:60 ; 8-byte Folded Reload
	s_waitcnt vmcnt(0)
	v_lshlrev_b64 v[2:3], 2, v[2:3]
	s_delay_alu instid0(VALU_DEP_1) | instskip(NEXT) | instid1(VALU_DEP_2)
	v_add_co_u32 v2, vcc_lo, s66, v2
	v_add_co_ci_u32_e32 v3, vcc_lo, s67, v3, vcc_lo
	global_store_b32 v[2:3], v45, off
	s_or_b32 exec_lo, exec_lo, s1
	s_and_saveexec_b32 s1, s18
	s_cbranch_execz .LBB7_403
.LBB7_467:
	v_add_co_u32 v2, vcc_lo, 0x4000, v0
	v_add_co_ci_u32_e32 v3, vcc_lo, 0, v1, vcc_lo
	global_store_b32 v[2:3], v44, off offset:1024
	s_or_b32 exec_lo, exec_lo, s1
	s_and_saveexec_b32 s1, s19
	s_cbranch_execz .LBB7_404
.LBB7_468:
	v_add_co_u32 v2, vcc_lo, 0x4000, v0
	v_add_co_ci_u32_e32 v3, vcc_lo, 0, v1, vcc_lo
	global_store_b32 v[2:3], v41, off offset:2048
	s_or_b32 exec_lo, exec_lo, s1
	s_and_saveexec_b32 s1, s20
	s_cbranch_execz .LBB7_405
.LBB7_469:
	v_add_co_u32 v2, vcc_lo, 0x4000, v0
	v_add_co_ci_u32_e32 v3, vcc_lo, 0, v1, vcc_lo
	global_store_b32 v[2:3], v40, off offset:3072
	s_or_b32 exec_lo, exec_lo, s1
	s_and_saveexec_b32 s1, s21
	s_cbranch_execz .LBB7_406
.LBB7_470:
	scratch_load_b64 v[2:3], off, off offset:68 ; 8-byte Folded Reload
	s_waitcnt vmcnt(0)
	v_lshlrev_b64 v[2:3], 2, v[2:3]
	s_delay_alu instid0(VALU_DEP_1) | instskip(NEXT) | instid1(VALU_DEP_2)
	v_add_co_u32 v2, vcc_lo, s66, v2
	v_add_co_ci_u32_e32 v3, vcc_lo, s67, v3, vcc_lo
	global_store_b32 v[2:3], v35, off
	s_or_b32 exec_lo, exec_lo, s1
	s_and_saveexec_b32 s1, s22
	s_cbranch_execz .LBB7_407
.LBB7_471:
	v_add_co_u32 v2, vcc_lo, 0x5000, v0
	v_add_co_ci_u32_e32 v3, vcc_lo, 0, v1, vcc_lo
	global_store_b32 v[2:3], v34, off offset:1024
	s_or_b32 exec_lo, exec_lo, s1
	s_and_saveexec_b32 s1, s23
	s_cbranch_execz .LBB7_408
.LBB7_472:
	v_add_co_u32 v2, vcc_lo, 0x5000, v0
	v_add_co_ci_u32_e32 v3, vcc_lo, 0, v1, vcc_lo
	global_store_b32 v[2:3], v29, off offset:2048
	s_or_b32 exec_lo, exec_lo, s1
	s_and_saveexec_b32 s1, s24
	s_cbranch_execz .LBB7_409
.LBB7_473:
	v_add_co_u32 v2, vcc_lo, 0x5000, v0
	v_add_co_ci_u32_e32 v3, vcc_lo, 0, v1, vcc_lo
	global_store_b32 v[2:3], v28, off offset:3072
	s_or_b32 exec_lo, exec_lo, s1
	s_and_saveexec_b32 s1, s25
	s_cbranch_execz .LBB7_410
.LBB7_474:
	scratch_load_b64 v[2:3], off, off offset:76 ; 8-byte Folded Reload
	s_waitcnt vmcnt(0)
	v_lshlrev_b64 v[2:3], 2, v[2:3]
	s_delay_alu instid0(VALU_DEP_1) | instskip(NEXT) | instid1(VALU_DEP_2)
	v_add_co_u32 v2, vcc_lo, s66, v2
	v_add_co_ci_u32_e32 v3, vcc_lo, s67, v3, vcc_lo
	global_store_b32 v[2:3], v25, off
	s_or_b32 exec_lo, exec_lo, s1
	s_and_saveexec_b32 s1, s26
	s_cbranch_execz .LBB7_411
.LBB7_475:
	v_add_co_u32 v2, vcc_lo, 0x6000, v0
	v_add_co_ci_u32_e32 v3, vcc_lo, 0, v1, vcc_lo
	global_store_b32 v[2:3], v24, off offset:1024
	s_or_b32 exec_lo, exec_lo, s1
	s_and_saveexec_b32 s1, s27
	s_cbranch_execz .LBB7_412
.LBB7_476:
	v_add_co_u32 v2, vcc_lo, 0x6000, v0
	v_add_co_ci_u32_e32 v3, vcc_lo, 0, v1, vcc_lo
	global_store_b32 v[2:3], v19, off offset:2048
	s_or_b32 exec_lo, exec_lo, s1
	s_and_saveexec_b32 s1, s28
	s_cbranch_execz .LBB7_413
.LBB7_477:
	v_add_co_u32 v2, vcc_lo, 0x6000, v0
	v_add_co_ci_u32_e32 v3, vcc_lo, 0, v1, vcc_lo
	global_store_b32 v[2:3], v18, off offset:3072
	s_or_b32 exec_lo, exec_lo, s1
	s_and_saveexec_b32 s1, s29
	s_cbranch_execz .LBB7_414
.LBB7_478:
	scratch_load_b64 v[2:3], off, off offset:84 ; 8-byte Folded Reload
	s_waitcnt vmcnt(0)
	v_lshlrev_b64 v[2:3], 2, v[2:3]
	s_delay_alu instid0(VALU_DEP_1) | instskip(NEXT) | instid1(VALU_DEP_2)
	v_add_co_u32 v2, vcc_lo, s66, v2
	v_add_co_ci_u32_e32 v3, vcc_lo, s67, v3, vcc_lo
	global_store_b32 v[2:3], v13, off
	s_or_b32 exec_lo, exec_lo, s1
	s_and_saveexec_b32 s1, s30
	s_cbranch_execz .LBB7_415
.LBB7_479:
	v_add_co_u32 v2, vcc_lo, 0x7000, v0
	v_add_co_ci_u32_e32 v3, vcc_lo, 0, v1, vcc_lo
	global_store_b32 v[2:3], v12, off offset:1024
	s_or_b32 exec_lo, exec_lo, s1
	s_and_saveexec_b32 s1, s31
	s_cbranch_execz .LBB7_416
.LBB7_480:
	v_add_co_u32 v2, vcc_lo, 0x7000, v0
	v_add_co_ci_u32_e32 v3, vcc_lo, 0, v1, vcc_lo
	global_store_b32 v[2:3], v7, off offset:2048
	s_or_b32 exec_lo, exec_lo, s1
	s_and_saveexec_b32 s1, s33
	s_cbranch_execz .LBB7_417
.LBB7_481:
	v_add_co_u32 v2, vcc_lo, 0x7000, v0
	v_add_co_ci_u32_e32 v3, vcc_lo, 0, v1, vcc_lo
	global_store_b32 v[2:3], v6, off offset:3072
	s_or_b32 exec_lo, exec_lo, s1
	s_and_saveexec_b32 s1, s34
	s_cbranch_execz .LBB7_418
.LBB7_482:
	scratch_load_b64 v[2:3], off, off offset:92 ; 8-byte Folded Reload
	s_waitcnt vmcnt(0)
	v_lshlrev_b64 v[2:3], 2, v[2:3]
	s_delay_alu instid0(VALU_DEP_1) | instskip(NEXT) | instid1(VALU_DEP_2)
	v_add_co_u32 v2, vcc_lo, s66, v2
	v_add_co_ci_u32_e32 v3, vcc_lo, s67, v3, vcc_lo
	global_store_b32 v[2:3], v191, off
	s_or_b32 exec_lo, exec_lo, s1
	s_and_saveexec_b32 s1, s35
	s_cbranch_execz .LBB7_419
.LBB7_483:
	v_add_co_u32 v2, vcc_lo, 0x8000, v0
	v_add_co_ci_u32_e32 v3, vcc_lo, 0, v1, vcc_lo
	global_store_b32 v[2:3], v190, off offset:1024
	s_or_b32 exec_lo, exec_lo, s1
	s_and_saveexec_b32 s1, s36
	s_cbranch_execz .LBB7_420
.LBB7_484:
	v_add_co_u32 v2, vcc_lo, 0x8000, v0
	v_add_co_ci_u32_e32 v3, vcc_lo, 0, v1, vcc_lo
	global_store_b32 v[2:3], v189, off offset:2048
	s_or_b32 exec_lo, exec_lo, s1
	s_and_saveexec_b32 s1, s37
	s_cbranch_execz .LBB7_421
.LBB7_485:
	v_add_co_u32 v2, vcc_lo, 0x8000, v0
	v_add_co_ci_u32_e32 v3, vcc_lo, 0, v1, vcc_lo
	global_store_b32 v[2:3], v188, off offset:3072
	s_or_b32 exec_lo, exec_lo, s1
	s_and_saveexec_b32 s1, s38
	s_cbranch_execz .LBB7_422
.LBB7_486:
	scratch_load_b64 v[2:3], off, off offset:100 ; 8-byte Folded Reload
	s_waitcnt vmcnt(0)
	v_lshlrev_b64 v[2:3], 2, v[2:3]
	s_delay_alu instid0(VALU_DEP_1) | instskip(NEXT) | instid1(VALU_DEP_2)
	v_add_co_u32 v2, vcc_lo, s66, v2
	v_add_co_ci_u32_e32 v3, vcc_lo, s67, v3, vcc_lo
	global_store_b32 v[2:3], v187, off
	s_or_b32 exec_lo, exec_lo, s1
	s_and_saveexec_b32 s1, s39
	s_cbranch_execz .LBB7_423
.LBB7_487:
	v_add_co_u32 v2, vcc_lo, 0x9000, v0
	v_add_co_ci_u32_e32 v3, vcc_lo, 0, v1, vcc_lo
	global_store_b32 v[2:3], v186, off offset:1024
	s_or_b32 exec_lo, exec_lo, s1
	s_and_saveexec_b32 s1, s40
	s_cbranch_execz .LBB7_424
.LBB7_488:
	v_add_co_u32 v2, vcc_lo, 0x9000, v0
	v_add_co_ci_u32_e32 v3, vcc_lo, 0, v1, vcc_lo
	global_store_b32 v[2:3], v185, off offset:2048
	s_or_b32 exec_lo, exec_lo, s1
	s_and_saveexec_b32 s1, s41
	s_cbranch_execz .LBB7_425
.LBB7_489:
	v_add_co_u32 v2, vcc_lo, 0x9000, v0
	v_add_co_ci_u32_e32 v3, vcc_lo, 0, v1, vcc_lo
	global_store_b32 v[2:3], v184, off offset:3072
	s_or_b32 exec_lo, exec_lo, s1
	s_and_saveexec_b32 s1, s42
	s_cbranch_execz .LBB7_426
.LBB7_490:
	scratch_load_b64 v[2:3], off, off offset:108 ; 8-byte Folded Reload
	s_waitcnt vmcnt(0)
	v_lshlrev_b64 v[2:3], 2, v[2:3]
	s_delay_alu instid0(VALU_DEP_1) | instskip(NEXT) | instid1(VALU_DEP_2)
	v_add_co_u32 v2, vcc_lo, s66, v2
	v_add_co_ci_u32_e32 v3, vcc_lo, s67, v3, vcc_lo
	global_store_b32 v[2:3], v183, off
	s_or_b32 exec_lo, exec_lo, s1
	s_and_saveexec_b32 s1, s43
	s_cbranch_execz .LBB7_427
.LBB7_491:
	v_add_co_u32 v2, vcc_lo, 0xa000, v0
	v_add_co_ci_u32_e32 v3, vcc_lo, 0, v1, vcc_lo
	global_store_b32 v[2:3], v182, off offset:1024
	s_or_b32 exec_lo, exec_lo, s1
	s_and_saveexec_b32 s1, s44
	s_cbranch_execz .LBB7_428
.LBB7_492:
	v_add_co_u32 v2, vcc_lo, 0xa000, v0
	v_add_co_ci_u32_e32 v3, vcc_lo, 0, v1, vcc_lo
	global_store_b32 v[2:3], v181, off offset:2048
	s_or_b32 exec_lo, exec_lo, s1
	s_and_saveexec_b32 s1, s45
	s_cbranch_execz .LBB7_429
.LBB7_493:
	v_add_co_u32 v2, vcc_lo, 0xa000, v0
	v_add_co_ci_u32_e32 v3, vcc_lo, 0, v1, vcc_lo
	global_store_b32 v[2:3], v180, off offset:3072
	s_or_b32 exec_lo, exec_lo, s1
	s_and_saveexec_b32 s1, s46
	s_cbranch_execz .LBB7_430
.LBB7_494:
	scratch_load_b64 v[2:3], off, off offset:116 ; 8-byte Folded Reload
	s_waitcnt vmcnt(0)
	v_lshlrev_b64 v[2:3], 2, v[2:3]
	s_delay_alu instid0(VALU_DEP_1) | instskip(NEXT) | instid1(VALU_DEP_2)
	v_add_co_u32 v2, vcc_lo, s66, v2
	v_add_co_ci_u32_e32 v3, vcc_lo, s67, v3, vcc_lo
	global_store_b32 v[2:3], v179, off
	s_or_b32 exec_lo, exec_lo, s1
	s_and_saveexec_b32 s1, s47
	s_cbranch_execz .LBB7_431
.LBB7_495:
	v_add_co_u32 v2, vcc_lo, 0xb000, v0
	v_add_co_ci_u32_e32 v3, vcc_lo, 0, v1, vcc_lo
	global_store_b32 v[2:3], v178, off offset:1024
	s_or_b32 exec_lo, exec_lo, s1
	s_and_saveexec_b32 s1, s48
	s_cbranch_execz .LBB7_432
.LBB7_496:
	v_add_co_u32 v2, vcc_lo, 0xb000, v0
	v_add_co_ci_u32_e32 v3, vcc_lo, 0, v1, vcc_lo
	global_store_b32 v[2:3], v177, off offset:2048
	s_or_b32 exec_lo, exec_lo, s1
	s_and_saveexec_b32 s1, s49
	s_cbranch_execz .LBB7_433
.LBB7_497:
	v_add_co_u32 v2, vcc_lo, 0xb000, v0
	v_add_co_ci_u32_e32 v3, vcc_lo, 0, v1, vcc_lo
	global_store_b32 v[2:3], v176, off offset:3072
	s_or_b32 exec_lo, exec_lo, s1
	s_and_saveexec_b32 s1, s50
	s_cbranch_execz .LBB7_434
.LBB7_498:
	scratch_load_b64 v[2:3], off, off offset:124 ; 8-byte Folded Reload
	s_waitcnt vmcnt(0)
	v_lshlrev_b64 v[2:3], 2, v[2:3]
	s_delay_alu instid0(VALU_DEP_1) | instskip(NEXT) | instid1(VALU_DEP_2)
	v_add_co_u32 v2, vcc_lo, s66, v2
	v_add_co_ci_u32_e32 v3, vcc_lo, s67, v3, vcc_lo
	global_store_b32 v[2:3], v175, off
	s_or_b32 exec_lo, exec_lo, s1
	s_and_saveexec_b32 s1, s51
	s_cbranch_execz .LBB7_435
.LBB7_499:
	v_add_co_u32 v2, vcc_lo, 0xc000, v0
	v_add_co_ci_u32_e32 v3, vcc_lo, 0, v1, vcc_lo
	global_store_b32 v[2:3], v174, off offset:1024
	s_or_b32 exec_lo, exec_lo, s1
	s_and_saveexec_b32 s1, s52
	s_cbranch_execz .LBB7_436
.LBB7_500:
	v_add_co_u32 v2, vcc_lo, 0xc000, v0
	v_add_co_ci_u32_e32 v3, vcc_lo, 0, v1, vcc_lo
	global_store_b32 v[2:3], v173, off offset:2048
	s_or_b32 exec_lo, exec_lo, s1
	s_and_saveexec_b32 s1, s53
	s_cbranch_execz .LBB7_437
.LBB7_501:
	v_add_co_u32 v2, vcc_lo, 0xc000, v0
	v_add_co_ci_u32_e32 v3, vcc_lo, 0, v1, vcc_lo
	global_store_b32 v[2:3], v172, off offset:3072
	s_or_b32 exec_lo, exec_lo, s1
	s_and_saveexec_b32 s1, s54
	s_cbranch_execz .LBB7_438
.LBB7_502:
	scratch_load_b64 v[2:3], off, off offset:132 ; 8-byte Folded Reload
	s_waitcnt vmcnt(0)
	v_lshlrev_b64 v[2:3], 2, v[2:3]
	s_delay_alu instid0(VALU_DEP_1) | instskip(NEXT) | instid1(VALU_DEP_2)
	v_add_co_u32 v2, vcc_lo, s66, v2
	v_add_co_ci_u32_e32 v3, vcc_lo, s67, v3, vcc_lo
	global_store_b32 v[2:3], v171, off
	s_or_b32 exec_lo, exec_lo, s1
	s_and_saveexec_b32 s1, s55
	s_cbranch_execz .LBB7_439
.LBB7_503:
	v_add_co_u32 v2, vcc_lo, 0xd000, v0
	v_add_co_ci_u32_e32 v3, vcc_lo, 0, v1, vcc_lo
	global_store_b32 v[2:3], v170, off offset:1024
	s_or_b32 exec_lo, exec_lo, s1
	s_and_saveexec_b32 s1, s56
	s_cbranch_execz .LBB7_440
.LBB7_504:
	v_add_co_u32 v2, vcc_lo, 0xd000, v0
	v_add_co_ci_u32_e32 v3, vcc_lo, 0, v1, vcc_lo
	global_store_b32 v[2:3], v169, off offset:2048
	s_or_b32 exec_lo, exec_lo, s1
	s_and_saveexec_b32 s1, s57
	s_cbranch_execz .LBB7_441
.LBB7_505:
	scratch_load_b32 v4, off, off offset:32 ; 4-byte Folded Reload
	v_add_co_u32 v2, vcc_lo, 0xd000, v0
	v_add_co_ci_u32_e32 v3, vcc_lo, 0, v1, vcc_lo
	s_waitcnt vmcnt(0)
	global_store_b32 v[2:3], v4, off offset:3072
	s_or_b32 exec_lo, exec_lo, s1
	s_and_saveexec_b32 s1, s58
	s_cbranch_execz .LBB7_442
.LBB7_506:
	s_clause 0x1
	scratch_load_b64 v[2:3], off, off offset:140
	scratch_load_b32 v4, off, off offset:28
	s_waitcnt vmcnt(1)
	v_lshlrev_b64 v[2:3], 2, v[2:3]
	s_delay_alu instid0(VALU_DEP_1) | instskip(NEXT) | instid1(VALU_DEP_2)
	v_add_co_u32 v2, vcc_lo, s66, v2
	v_add_co_ci_u32_e32 v3, vcc_lo, s67, v3, vcc_lo
	s_waitcnt vmcnt(0)
	global_store_b32 v[2:3], v4, off
	s_or_b32 exec_lo, exec_lo, s1
	s_and_saveexec_b32 s1, s59
	s_cbranch_execz .LBB7_443
.LBB7_507:
	scratch_load_b32 v4, off, off offset:24 ; 4-byte Folded Reload
	v_add_co_u32 v2, vcc_lo, 0xe000, v0
	v_add_co_ci_u32_e32 v3, vcc_lo, 0, v1, vcc_lo
	s_waitcnt vmcnt(0)
	global_store_b32 v[2:3], v4, off offset:1024
	s_or_b32 exec_lo, exec_lo, s1
	s_and_saveexec_b32 s1, s60
	s_cbranch_execz .LBB7_444
.LBB7_508:
	scratch_load_b32 v4, off, off offset:20 ; 4-byte Folded Reload
	v_add_co_u32 v2, vcc_lo, 0xe000, v0
	v_add_co_ci_u32_e32 v3, vcc_lo, 0, v1, vcc_lo
	s_waitcnt vmcnt(0)
	global_store_b32 v[2:3], v4, off offset:2048
	s_or_b32 exec_lo, exec_lo, s1
	s_and_saveexec_b32 s1, s61
	s_cbranch_execz .LBB7_445
.LBB7_509:
	scratch_load_b32 v4, off, off offset:16 ; 4-byte Folded Reload
	v_add_co_u32 v2, vcc_lo, 0xe000, v0
	v_add_co_ci_u32_e32 v3, vcc_lo, 0, v1, vcc_lo
	s_waitcnt vmcnt(0)
	global_store_b32 v[2:3], v4, off offset:3072
	s_or_b32 exec_lo, exec_lo, s1
	s_and_saveexec_b32 s1, s62
	s_cbranch_execz .LBB7_446
.LBB7_510:
	s_clause 0x1
	scratch_load_b64 v[2:3], off, off offset:148
	scratch_load_b32 v4, off, off offset:12
	s_waitcnt vmcnt(1)
	v_lshlrev_b64 v[2:3], 2, v[2:3]
	s_delay_alu instid0(VALU_DEP_1) | instskip(NEXT) | instid1(VALU_DEP_2)
	v_add_co_u32 v2, vcc_lo, s66, v2
	v_add_co_ci_u32_e32 v3, vcc_lo, s67, v3, vcc_lo
	s_waitcnt vmcnt(0)
	global_store_b32 v[2:3], v4, off
	s_or_b32 exec_lo, exec_lo, s1
	s_and_saveexec_b32 s1, s63
	s_cbranch_execz .LBB7_447
.LBB7_511:
	scratch_load_b32 v4, off, off offset:8  ; 4-byte Folded Reload
	v_add_co_u32 v2, vcc_lo, 0xf000, v0
	v_add_co_ci_u32_e32 v3, vcc_lo, 0, v1, vcc_lo
	s_waitcnt vmcnt(0)
	global_store_b32 v[2:3], v4, off offset:1024
	s_or_b32 exec_lo, exec_lo, s1
	s_and_saveexec_b32 s1, s64
	s_cbranch_execz .LBB7_448
.LBB7_512:
	scratch_load_b32 v4, off, off offset:4  ; 4-byte Folded Reload
	v_add_co_u32 v2, vcc_lo, 0xf000, v0
	v_add_co_ci_u32_e32 v3, vcc_lo, 0, v1, vcc_lo
	s_waitcnt vmcnt(0)
	global_store_b32 v[2:3], v4, off offset:2048
	s_or_b32 exec_lo, exec_lo, s1
	s_delay_alu instid0(SALU_CYCLE_1)
	s_and_b32 exec_lo, exec_lo, s0
	s_cbranch_execnz .LBB7_449
	s_branch .LBB7_450
	.section	.rodata,"a",@progbits
	.p2align	6, 0x0
	.amdhsa_kernel _Z10pnpoly_optILi64EEvPiPK15HIP_vector_typeIfLj2EES4_i
		.amdhsa_group_segment_fixed_size 0
		.amdhsa_private_segment_fixed_size 160
		.amdhsa_kernarg_size 28
		.amdhsa_user_sgpr_count 15
		.amdhsa_user_sgpr_dispatch_ptr 0
		.amdhsa_user_sgpr_queue_ptr 0
		.amdhsa_user_sgpr_kernarg_segment_ptr 1
		.amdhsa_user_sgpr_dispatch_id 0
		.amdhsa_user_sgpr_private_segment_size 0
		.amdhsa_wavefront_size32 1
		.amdhsa_uses_dynamic_stack 0
		.amdhsa_enable_private_segment 1
		.amdhsa_system_sgpr_workgroup_id_x 1
		.amdhsa_system_sgpr_workgroup_id_y 0
		.amdhsa_system_sgpr_workgroup_id_z 0
		.amdhsa_system_sgpr_workgroup_info 0
		.amdhsa_system_vgpr_workitem_id 0
		.amdhsa_next_free_vgpr 192
		.amdhsa_next_free_sgpr 78
		.amdhsa_reserve_vcc 1
		.amdhsa_float_round_mode_32 0
		.amdhsa_float_round_mode_16_64 0
		.amdhsa_float_denorm_mode_32 3
		.amdhsa_float_denorm_mode_16_64 3
		.amdhsa_dx10_clamp 1
		.amdhsa_ieee_mode 1
		.amdhsa_fp16_overflow 0
		.amdhsa_workgroup_processor_mode 1
		.amdhsa_memory_ordered 1
		.amdhsa_forward_progress 0
		.amdhsa_shared_vgpr_count 0
		.amdhsa_exception_fp_ieee_invalid_op 0
		.amdhsa_exception_fp_denorm_src 0
		.amdhsa_exception_fp_ieee_div_zero 0
		.amdhsa_exception_fp_ieee_overflow 0
		.amdhsa_exception_fp_ieee_underflow 0
		.amdhsa_exception_fp_ieee_inexact 0
		.amdhsa_exception_int_div_zero 0
	.end_amdhsa_kernel
	.section	.text._Z10pnpoly_optILi64EEvPiPK15HIP_vector_typeIfLj2EES4_i,"axG",@progbits,_Z10pnpoly_optILi64EEvPiPK15HIP_vector_typeIfLj2EES4_i,comdat
.Lfunc_end7:
	.size	_Z10pnpoly_optILi64EEvPiPK15HIP_vector_typeIfLj2EES4_i, .Lfunc_end7-_Z10pnpoly_optILi64EEvPiPK15HIP_vector_typeIfLj2EES4_i
                                        ; -- End function
	.section	.AMDGPU.csdata,"",@progbits
; Kernel info:
; codeLenInByte = 13372
; NumSgprs: 80
; NumVgprs: 192
; ScratchSize: 160
; MemoryBound: 0
; FloatMode: 240
; IeeeMode: 1
; LDSByteSize: 0 bytes/workgroup (compile time only)
; SGPRBlocks: 9
; VGPRBlocks: 23
; NumSGPRsForWavesPerEU: 80
; NumVGPRsForWavesPerEU: 192
; Occupancy: 8
; WaveLimiterHint : 0
; COMPUTE_PGM_RSRC2:SCRATCH_EN: 1
; COMPUTE_PGM_RSRC2:USER_SGPR: 15
; COMPUTE_PGM_RSRC2:TRAP_HANDLER: 0
; COMPUTE_PGM_RSRC2:TGID_X_EN: 1
; COMPUTE_PGM_RSRC2:TGID_Y_EN: 0
; COMPUTE_PGM_RSRC2:TGID_Z_EN: 0
; COMPUTE_PGM_RSRC2:TIDIG_COMP_CNT: 0
	.text
	.p2alignl 7, 3214868480
	.fill 96, 4, 3214868480
	.type	__hip_cuid_128115e5b5e0ec62,@object ; @__hip_cuid_128115e5b5e0ec62
	.section	.bss,"aw",@nobits
	.globl	__hip_cuid_128115e5b5e0ec62
__hip_cuid_128115e5b5e0ec62:
	.byte	0                               ; 0x0
	.size	__hip_cuid_128115e5b5e0ec62, 1

	.ident	"AMD clang version 19.0.0git (https://github.com/RadeonOpenCompute/llvm-project roc-6.4.0 25133 c7fe45cf4b819c5991fe208aaa96edf142730f1d)"
	.section	".note.GNU-stack","",@progbits
	.addrsig
	.addrsig_sym __hip_cuid_128115e5b5e0ec62
	.amdgpu_metadata
---
amdhsa.kernels:
  - .args:
      - .actual_access:  write_only
        .address_space:  global
        .offset:         0
        .size:           8
        .value_kind:     global_buffer
      - .actual_access:  read_only
        .address_space:  global
        .offset:         8
        .size:           8
        .value_kind:     global_buffer
      - .actual_access:  read_only
        .address_space:  global
        .offset:         16
        .size:           8
        .value_kind:     global_buffer
      - .offset:         24
        .size:           4
        .value_kind:     by_value
      - .offset:         32
        .size:           4
        .value_kind:     hidden_block_count_x
      - .offset:         36
        .size:           4
        .value_kind:     hidden_block_count_y
      - .offset:         40
        .size:           4
        .value_kind:     hidden_block_count_z
      - .offset:         44
        .size:           2
        .value_kind:     hidden_group_size_x
      - .offset:         46
        .size:           2
        .value_kind:     hidden_group_size_y
      - .offset:         48
        .size:           2
        .value_kind:     hidden_group_size_z
      - .offset:         50
        .size:           2
        .value_kind:     hidden_remainder_x
      - .offset:         52
        .size:           2
        .value_kind:     hidden_remainder_y
      - .offset:         54
        .size:           2
        .value_kind:     hidden_remainder_z
      - .offset:         72
        .size:           8
        .value_kind:     hidden_global_offset_x
      - .offset:         80
        .size:           8
        .value_kind:     hidden_global_offset_y
      - .offset:         88
        .size:           8
        .value_kind:     hidden_global_offset_z
      - .offset:         96
        .size:           2
        .value_kind:     hidden_grid_dims
    .group_segment_fixed_size: 0
    .kernarg_segment_align: 8
    .kernarg_segment_size: 288
    .language:       OpenCL C
    .language_version:
      - 2
      - 0
    .max_flat_workgroup_size: 1024
    .name:           _Z11pnpoly_basePiPK15HIP_vector_typeIfLj2EES3_i
    .private_segment_fixed_size: 0
    .sgpr_count:     18
    .sgpr_spill_count: 0
    .symbol:         _Z11pnpoly_basePiPK15HIP_vector_typeIfLj2EES3_i.kd
    .uniform_work_group_size: 1
    .uses_dynamic_stack: false
    .vgpr_count:     12
    .vgpr_spill_count: 0
    .wavefront_size: 32
    .workgroup_processor_mode: 1
  - .args:
      - .actual_access:  write_only
        .address_space:  global
        .offset:         0
        .size:           8
        .value_kind:     global_buffer
      - .actual_access:  read_only
        .address_space:  global
        .offset:         8
        .size:           8
        .value_kind:     global_buffer
      - .actual_access:  read_only
        .address_space:  global
        .offset:         16
        .size:           8
        .value_kind:     global_buffer
      - .offset:         24
        .size:           4
        .value_kind:     by_value
    .group_segment_fixed_size: 0
    .kernarg_segment_align: 8
    .kernarg_segment_size: 28
    .language:       OpenCL C
    .language_version:
      - 2
      - 0
    .max_flat_workgroup_size: 1024
    .name:           _Z10pnpoly_optILi1EEvPiPK15HIP_vector_typeIfLj2EES4_i
    .private_segment_fixed_size: 0
    .sgpr_count:     18
    .sgpr_spill_count: 0
    .symbol:         _Z10pnpoly_optILi1EEvPiPK15HIP_vector_typeIfLj2EES4_i.kd
    .uniform_work_group_size: 1
    .uses_dynamic_stack: false
    .vgpr_count:     12
    .vgpr_spill_count: 0
    .wavefront_size: 32
    .workgroup_processor_mode: 1
  - .args:
      - .actual_access:  write_only
        .address_space:  global
        .offset:         0
        .size:           8
        .value_kind:     global_buffer
      - .actual_access:  read_only
        .address_space:  global
        .offset:         8
        .size:           8
        .value_kind:     global_buffer
      - .actual_access:  read_only
        .address_space:  global
        .offset:         16
        .size:           8
        .value_kind:     global_buffer
      - .offset:         24
        .size:           4
        .value_kind:     by_value
    .group_segment_fixed_size: 0
    .kernarg_segment_align: 8
    .kernarg_segment_size: 28
    .language:       OpenCL C
    .language_version:
      - 2
      - 0
    .max_flat_workgroup_size: 1024
    .name:           _Z10pnpoly_optILi2EEvPiPK15HIP_vector_typeIfLj2EES4_i
    .private_segment_fixed_size: 0
    .sgpr_count:     18
    .sgpr_spill_count: 0
    .symbol:         _Z10pnpoly_optILi2EEvPiPK15HIP_vector_typeIfLj2EES4_i.kd
    .uniform_work_group_size: 1
    .uses_dynamic_stack: false
    .vgpr_count:     15
    .vgpr_spill_count: 0
    .wavefront_size: 32
    .workgroup_processor_mode: 1
  - .args:
      - .actual_access:  write_only
        .address_space:  global
        .offset:         0
        .size:           8
        .value_kind:     global_buffer
      - .actual_access:  read_only
        .address_space:  global
        .offset:         8
        .size:           8
        .value_kind:     global_buffer
      - .actual_access:  read_only
        .address_space:  global
        .offset:         16
        .size:           8
        .value_kind:     global_buffer
      - .offset:         24
        .size:           4
        .value_kind:     by_value
    .group_segment_fixed_size: 0
    .kernarg_segment_align: 8
    .kernarg_segment_size: 28
    .language:       OpenCL C
    .language_version:
      - 2
      - 0
    .max_flat_workgroup_size: 1024
    .name:           _Z10pnpoly_optILi4EEvPiPK15HIP_vector_typeIfLj2EES4_i
    .private_segment_fixed_size: 0
    .sgpr_count:     18
    .sgpr_spill_count: 0
    .symbol:         _Z10pnpoly_optILi4EEvPiPK15HIP_vector_typeIfLj2EES4_i.kd
    .uniform_work_group_size: 1
    .uses_dynamic_stack: false
    .vgpr_count:     21
    .vgpr_spill_count: 0
    .wavefront_size: 32
    .workgroup_processor_mode: 1
  - .args:
      - .actual_access:  write_only
        .address_space:  global
        .offset:         0
        .size:           8
        .value_kind:     global_buffer
      - .actual_access:  read_only
        .address_space:  global
        .offset:         8
        .size:           8
        .value_kind:     global_buffer
      - .actual_access:  read_only
        .address_space:  global
        .offset:         16
        .size:           8
        .value_kind:     global_buffer
      - .offset:         24
        .size:           4
        .value_kind:     by_value
    .group_segment_fixed_size: 0
    .kernarg_segment_align: 8
    .kernarg_segment_size: 28
    .language:       OpenCL C
    .language_version:
      - 2
      - 0
    .max_flat_workgroup_size: 1024
    .name:           _Z10pnpoly_optILi8EEvPiPK15HIP_vector_typeIfLj2EES4_i
    .private_segment_fixed_size: 0
    .sgpr_count:     30
    .sgpr_spill_count: 0
    .symbol:         _Z10pnpoly_optILi8EEvPiPK15HIP_vector_typeIfLj2EES4_i.kd
    .uniform_work_group_size: 1
    .uses_dynamic_stack: false
    .vgpr_count:     35
    .vgpr_spill_count: 0
    .wavefront_size: 32
    .workgroup_processor_mode: 1
  - .args:
      - .actual_access:  write_only
        .address_space:  global
        .offset:         0
        .size:           8
        .value_kind:     global_buffer
      - .actual_access:  read_only
        .address_space:  global
        .offset:         8
        .size:           8
        .value_kind:     global_buffer
      - .actual_access:  read_only
        .address_space:  global
        .offset:         16
        .size:           8
        .value_kind:     global_buffer
      - .offset:         24
        .size:           4
        .value_kind:     by_value
    .group_segment_fixed_size: 0
    .kernarg_segment_align: 8
    .kernarg_segment_size: 28
    .language:       OpenCL C
    .language_version:
      - 2
      - 0
    .max_flat_workgroup_size: 1024
    .name:           _Z10pnpoly_optILi16EEvPiPK15HIP_vector_typeIfLj2EES4_i
    .private_segment_fixed_size: 0
    .sgpr_count:     42
    .sgpr_spill_count: 0
    .symbol:         _Z10pnpoly_optILi16EEvPiPK15HIP_vector_typeIfLj2EES4_i.kd
    .uniform_work_group_size: 1
    .uses_dynamic_stack: false
    .vgpr_count:     63
    .vgpr_spill_count: 0
    .wavefront_size: 32
    .workgroup_processor_mode: 1
  - .args:
      - .actual_access:  write_only
        .address_space:  global
        .offset:         0
        .size:           8
        .value_kind:     global_buffer
      - .actual_access:  read_only
        .address_space:  global
        .offset:         8
        .size:           8
        .value_kind:     global_buffer
      - .actual_access:  read_only
        .address_space:  global
        .offset:         16
        .size:           8
        .value_kind:     global_buffer
      - .offset:         24
        .size:           4
        .value_kind:     by_value
    .group_segment_fixed_size: 0
    .kernarg_segment_align: 8
    .kernarg_segment_size: 28
    .language:       OpenCL C
    .language_version:
      - 2
      - 0
    .max_flat_workgroup_size: 1024
    .name:           _Z10pnpoly_optILi32EEvPiPK15HIP_vector_typeIfLj2EES4_i
    .private_segment_fixed_size: 0
    .sgpr_count:     48
    .sgpr_spill_count: 0
    .symbol:         _Z10pnpoly_optILi32EEvPiPK15HIP_vector_typeIfLj2EES4_i.kd
    .uniform_work_group_size: 1
    .uses_dynamic_stack: false
    .vgpr_count:     119
    .vgpr_spill_count: 0
    .wavefront_size: 32
    .workgroup_processor_mode: 1
  - .args:
      - .actual_access:  write_only
        .address_space:  global
        .offset:         0
        .size:           8
        .value_kind:     global_buffer
      - .actual_access:  read_only
        .address_space:  global
        .offset:         8
        .size:           8
        .value_kind:     global_buffer
      - .actual_access:  read_only
        .address_space:  global
        .offset:         16
        .size:           8
        .value_kind:     global_buffer
      - .offset:         24
        .size:           4
        .value_kind:     by_value
    .group_segment_fixed_size: 0
    .kernarg_segment_align: 8
    .kernarg_segment_size: 28
    .language:       OpenCL C
    .language_version:
      - 2
      - 0
    .max_flat_workgroup_size: 1024
    .name:           _Z10pnpoly_optILi64EEvPiPK15HIP_vector_typeIfLj2EES4_i
    .private_segment_fixed_size: 160
    .sgpr_count:     80
    .sgpr_spill_count: 0
    .symbol:         _Z10pnpoly_optILi64EEvPiPK15HIP_vector_typeIfLj2EES4_i.kd
    .uniform_work_group_size: 1
    .uses_dynamic_stack: false
    .vgpr_count:     192
    .vgpr_spill_count: 48
    .wavefront_size: 32
    .workgroup_processor_mode: 1
amdhsa.target:   amdgcn-amd-amdhsa--gfx1100
amdhsa.version:
  - 1
  - 2
...

	.end_amdgpu_metadata
